;; amdgpu-corpus repo=ROCm/rocFFT kind=compiled arch=gfx1201 opt=O3
	.text
	.amdgcn_target "amdgcn-amd-amdhsa--gfx1201"
	.amdhsa_code_object_version 6
	.protected	fft_rtc_fwd_len1400_factors_2_2_2_5_7_5_wgs_56_tpt_56_halfLds_sp_op_CI_CI_unitstride_sbrr_R2C_dirReg ; -- Begin function fft_rtc_fwd_len1400_factors_2_2_2_5_7_5_wgs_56_tpt_56_halfLds_sp_op_CI_CI_unitstride_sbrr_R2C_dirReg
	.globl	fft_rtc_fwd_len1400_factors_2_2_2_5_7_5_wgs_56_tpt_56_halfLds_sp_op_CI_CI_unitstride_sbrr_R2C_dirReg
	.p2align	8
	.type	fft_rtc_fwd_len1400_factors_2_2_2_5_7_5_wgs_56_tpt_56_halfLds_sp_op_CI_CI_unitstride_sbrr_R2C_dirReg,@function
fft_rtc_fwd_len1400_factors_2_2_2_5_7_5_wgs_56_tpt_56_halfLds_sp_op_CI_CI_unitstride_sbrr_R2C_dirReg: ; @fft_rtc_fwd_len1400_factors_2_2_2_5_7_5_wgs_56_tpt_56_halfLds_sp_op_CI_CI_unitstride_sbrr_R2C_dirReg
; %bb.0:
	s_clause 0x2
	s_load_b128 s[8:11], s[0:1], 0x0
	s_load_b128 s[4:7], s[0:1], 0x58
	;; [unrolled: 1-line block ×3, first 2 shown]
	v_mul_u32_u24_e32 v1, 0x493, v0
	v_mov_b32_e32 v3, 0
	s_delay_alu instid0(VALU_DEP_2) | instskip(NEXT) | instid1(VALU_DEP_1)
	v_lshrrev_b32_e32 v1, 16, v1
	v_add_nc_u32_e32 v5, ttmp9, v1
	v_mov_b32_e32 v1, 0
	v_mov_b32_e32 v2, 0
	;; [unrolled: 1-line block ×3, first 2 shown]
	s_wait_kmcnt 0x0
	v_cmp_lt_u64_e64 s2, s[10:11], 2
	s_delay_alu instid0(VALU_DEP_1)
	s_and_b32 vcc_lo, exec_lo, s2
	s_cbranch_vccnz .LBB0_8
; %bb.1:
	s_load_b64 s[2:3], s[0:1], 0x10
	v_mov_b32_e32 v1, 0
	v_mov_b32_e32 v2, 0
	s_add_nc_u64 s[16:17], s[14:15], 8
	s_add_nc_u64 s[18:19], s[12:13], 8
	s_mov_b64 s[20:21], 1
	s_delay_alu instid0(VALU_DEP_1)
	v_dual_mov_b32 v51, v2 :: v_dual_mov_b32 v50, v1
	s_wait_kmcnt 0x0
	s_add_nc_u64 s[22:23], s[2:3], 8
	s_mov_b32 s3, 0
.LBB0_2:                                ; =>This Inner Loop Header: Depth=1
	s_load_b64 s[24:25], s[22:23], 0x0
                                        ; implicit-def: $vgpr52_vgpr53
	s_mov_b32 s2, exec_lo
	s_wait_kmcnt 0x0
	v_or_b32_e32 v4, s25, v6
	s_delay_alu instid0(VALU_DEP_1)
	v_cmpx_ne_u64_e32 0, v[3:4]
	s_wait_alu 0xfffe
	s_xor_b32 s26, exec_lo, s2
	s_cbranch_execz .LBB0_4
; %bb.3:                                ;   in Loop: Header=BB0_2 Depth=1
	s_cvt_f32_u32 s2, s24
	s_cvt_f32_u32 s27, s25
	s_sub_nc_u64 s[30:31], 0, s[24:25]
	s_wait_alu 0xfffe
	s_delay_alu instid0(SALU_CYCLE_1) | instskip(SKIP_1) | instid1(SALU_CYCLE_2)
	s_fmamk_f32 s2, s27, 0x4f800000, s2
	s_wait_alu 0xfffe
	v_s_rcp_f32 s2, s2
	s_delay_alu instid0(TRANS32_DEP_1) | instskip(SKIP_1) | instid1(SALU_CYCLE_2)
	s_mul_f32 s2, s2, 0x5f7ffffc
	s_wait_alu 0xfffe
	s_mul_f32 s27, s2, 0x2f800000
	s_wait_alu 0xfffe
	s_delay_alu instid0(SALU_CYCLE_2) | instskip(SKIP_1) | instid1(SALU_CYCLE_2)
	s_trunc_f32 s27, s27
	s_wait_alu 0xfffe
	s_fmamk_f32 s2, s27, 0xcf800000, s2
	s_cvt_u32_f32 s29, s27
	s_wait_alu 0xfffe
	s_delay_alu instid0(SALU_CYCLE_1) | instskip(SKIP_1) | instid1(SALU_CYCLE_2)
	s_cvt_u32_f32 s28, s2
	s_wait_alu 0xfffe
	s_mul_u64 s[34:35], s[30:31], s[28:29]
	s_wait_alu 0xfffe
	s_mul_hi_u32 s37, s28, s35
	s_mul_i32 s36, s28, s35
	s_mul_hi_u32 s2, s28, s34
	s_mul_i32 s33, s29, s34
	s_wait_alu 0xfffe
	s_add_nc_u64 s[36:37], s[2:3], s[36:37]
	s_mul_hi_u32 s27, s29, s34
	s_mul_hi_u32 s38, s29, s35
	s_add_co_u32 s2, s36, s33
	s_wait_alu 0xfffe
	s_add_co_ci_u32 s2, s37, s27
	s_mul_i32 s34, s29, s35
	s_add_co_ci_u32 s35, s38, 0
	s_wait_alu 0xfffe
	s_add_nc_u64 s[34:35], s[2:3], s[34:35]
	s_wait_alu 0xfffe
	v_add_co_u32 v4, s2, s28, s34
	s_delay_alu instid0(VALU_DEP_1) | instskip(SKIP_1) | instid1(VALU_DEP_1)
	s_cmp_lg_u32 s2, 0
	s_add_co_ci_u32 s29, s29, s35
	v_readfirstlane_b32 s28, v4
	s_wait_alu 0xfffe
	s_delay_alu instid0(VALU_DEP_1)
	s_mul_u64 s[30:31], s[30:31], s[28:29]
	s_wait_alu 0xfffe
	s_mul_hi_u32 s35, s28, s31
	s_mul_i32 s34, s28, s31
	s_mul_hi_u32 s2, s28, s30
	s_mul_i32 s33, s29, s30
	s_wait_alu 0xfffe
	s_add_nc_u64 s[34:35], s[2:3], s[34:35]
	s_mul_hi_u32 s27, s29, s30
	s_mul_hi_u32 s28, s29, s31
	s_wait_alu 0xfffe
	s_add_co_u32 s2, s34, s33
	s_add_co_ci_u32 s2, s35, s27
	s_mul_i32 s30, s29, s31
	s_add_co_ci_u32 s31, s28, 0
	s_wait_alu 0xfffe
	s_add_nc_u64 s[30:31], s[2:3], s[30:31]
	s_wait_alu 0xfffe
	v_add_co_u32 v4, s2, v4, s30
	s_delay_alu instid0(VALU_DEP_1) | instskip(SKIP_1) | instid1(VALU_DEP_1)
	s_cmp_lg_u32 s2, 0
	s_add_co_ci_u32 s2, s29, s31
	v_mul_hi_u32 v13, v5, v4
	s_wait_alu 0xfffe
	v_mad_co_u64_u32 v[7:8], null, v5, s2, 0
	v_mad_co_u64_u32 v[9:10], null, v6, v4, 0
	;; [unrolled: 1-line block ×3, first 2 shown]
	s_delay_alu instid0(VALU_DEP_3) | instskip(SKIP_1) | instid1(VALU_DEP_4)
	v_add_co_u32 v4, vcc_lo, v13, v7
	s_wait_alu 0xfffd
	v_add_co_ci_u32_e32 v7, vcc_lo, 0, v8, vcc_lo
	s_delay_alu instid0(VALU_DEP_2) | instskip(SKIP_1) | instid1(VALU_DEP_2)
	v_add_co_u32 v4, vcc_lo, v4, v9
	s_wait_alu 0xfffd
	v_add_co_ci_u32_e32 v4, vcc_lo, v7, v10, vcc_lo
	s_wait_alu 0xfffd
	v_add_co_ci_u32_e32 v7, vcc_lo, 0, v12, vcc_lo
	s_delay_alu instid0(VALU_DEP_2) | instskip(SKIP_1) | instid1(VALU_DEP_2)
	v_add_co_u32 v4, vcc_lo, v4, v11
	s_wait_alu 0xfffd
	v_add_co_ci_u32_e32 v9, vcc_lo, 0, v7, vcc_lo
	s_delay_alu instid0(VALU_DEP_2) | instskip(SKIP_1) | instid1(VALU_DEP_3)
	v_mul_lo_u32 v10, s25, v4
	v_mad_co_u64_u32 v[7:8], null, s24, v4, 0
	v_mul_lo_u32 v11, s24, v9
	s_delay_alu instid0(VALU_DEP_2) | instskip(NEXT) | instid1(VALU_DEP_2)
	v_sub_co_u32 v7, vcc_lo, v5, v7
	v_add3_u32 v8, v8, v11, v10
	s_delay_alu instid0(VALU_DEP_1) | instskip(SKIP_1) | instid1(VALU_DEP_1)
	v_sub_nc_u32_e32 v10, v6, v8
	s_wait_alu 0xfffd
	v_subrev_co_ci_u32_e64 v10, s2, s25, v10, vcc_lo
	v_add_co_u32 v11, s2, v4, 2
	s_wait_alu 0xf1ff
	v_add_co_ci_u32_e64 v12, s2, 0, v9, s2
	v_sub_co_u32 v13, s2, v7, s24
	v_sub_co_ci_u32_e32 v8, vcc_lo, v6, v8, vcc_lo
	s_wait_alu 0xf1ff
	v_subrev_co_ci_u32_e64 v10, s2, 0, v10, s2
	s_delay_alu instid0(VALU_DEP_3) | instskip(NEXT) | instid1(VALU_DEP_3)
	v_cmp_le_u32_e32 vcc_lo, s24, v13
	v_cmp_eq_u32_e64 s2, s25, v8
	s_wait_alu 0xfffd
	v_cndmask_b32_e64 v13, 0, -1, vcc_lo
	v_cmp_le_u32_e32 vcc_lo, s25, v10
	s_wait_alu 0xfffd
	v_cndmask_b32_e64 v14, 0, -1, vcc_lo
	v_cmp_le_u32_e32 vcc_lo, s24, v7
	;; [unrolled: 3-line block ×3, first 2 shown]
	s_wait_alu 0xfffd
	v_cndmask_b32_e64 v15, 0, -1, vcc_lo
	v_cmp_eq_u32_e32 vcc_lo, s25, v10
	s_wait_alu 0xf1ff
	s_delay_alu instid0(VALU_DEP_2)
	v_cndmask_b32_e64 v7, v15, v7, s2
	s_wait_alu 0xfffd
	v_cndmask_b32_e32 v10, v14, v13, vcc_lo
	v_add_co_u32 v13, vcc_lo, v4, 1
	s_wait_alu 0xfffd
	v_add_co_ci_u32_e32 v14, vcc_lo, 0, v9, vcc_lo
	s_delay_alu instid0(VALU_DEP_3) | instskip(SKIP_1) | instid1(VALU_DEP_2)
	v_cmp_ne_u32_e32 vcc_lo, 0, v10
	s_wait_alu 0xfffd
	v_cndmask_b32_e32 v8, v14, v12, vcc_lo
	v_cndmask_b32_e32 v10, v13, v11, vcc_lo
	v_cmp_ne_u32_e32 vcc_lo, 0, v7
	s_wait_alu 0xfffd
	s_delay_alu instid0(VALU_DEP_2)
	v_dual_cndmask_b32 v53, v9, v8 :: v_dual_cndmask_b32 v52, v4, v10
.LBB0_4:                                ;   in Loop: Header=BB0_2 Depth=1
	s_wait_alu 0xfffe
	s_and_not1_saveexec_b32 s2, s26
	s_cbranch_execz .LBB0_6
; %bb.5:                                ;   in Loop: Header=BB0_2 Depth=1
	v_cvt_f32_u32_e32 v4, s24
	s_sub_co_i32 s26, 0, s24
	v_mov_b32_e32 v53, v3
	s_delay_alu instid0(VALU_DEP_2) | instskip(NEXT) | instid1(TRANS32_DEP_1)
	v_rcp_iflag_f32_e32 v4, v4
	v_mul_f32_e32 v4, 0x4f7ffffe, v4
	s_delay_alu instid0(VALU_DEP_1) | instskip(SKIP_1) | instid1(VALU_DEP_1)
	v_cvt_u32_f32_e32 v4, v4
	s_wait_alu 0xfffe
	v_mul_lo_u32 v7, s26, v4
	s_delay_alu instid0(VALU_DEP_1) | instskip(NEXT) | instid1(VALU_DEP_1)
	v_mul_hi_u32 v7, v4, v7
	v_add_nc_u32_e32 v4, v4, v7
	s_delay_alu instid0(VALU_DEP_1) | instskip(NEXT) | instid1(VALU_DEP_1)
	v_mul_hi_u32 v4, v5, v4
	v_mul_lo_u32 v7, v4, s24
	v_add_nc_u32_e32 v8, 1, v4
	s_delay_alu instid0(VALU_DEP_2) | instskip(NEXT) | instid1(VALU_DEP_1)
	v_sub_nc_u32_e32 v7, v5, v7
	v_subrev_nc_u32_e32 v9, s24, v7
	v_cmp_le_u32_e32 vcc_lo, s24, v7
	s_wait_alu 0xfffd
	s_delay_alu instid0(VALU_DEP_2) | instskip(NEXT) | instid1(VALU_DEP_1)
	v_dual_cndmask_b32 v7, v7, v9 :: v_dual_cndmask_b32 v4, v4, v8
	v_cmp_le_u32_e32 vcc_lo, s24, v7
	s_delay_alu instid0(VALU_DEP_2) | instskip(SKIP_1) | instid1(VALU_DEP_1)
	v_add_nc_u32_e32 v8, 1, v4
	s_wait_alu 0xfffd
	v_cndmask_b32_e32 v52, v4, v8, vcc_lo
.LBB0_6:                                ;   in Loop: Header=BB0_2 Depth=1
	s_wait_alu 0xfffe
	s_or_b32 exec_lo, exec_lo, s2
	v_mul_lo_u32 v4, v53, s24
	s_delay_alu instid0(VALU_DEP_2)
	v_mul_lo_u32 v9, v52, s25
	s_load_b64 s[26:27], s[18:19], 0x0
	v_mad_co_u64_u32 v[7:8], null, v52, s24, 0
	s_load_b64 s[24:25], s[16:17], 0x0
	s_add_nc_u64 s[20:21], s[20:21], 1
	s_add_nc_u64 s[16:17], s[16:17], 8
	s_wait_alu 0xfffe
	v_cmp_ge_u64_e64 s2, s[20:21], s[10:11]
	s_add_nc_u64 s[18:19], s[18:19], 8
	s_add_nc_u64 s[22:23], s[22:23], 8
	v_add3_u32 v4, v8, v9, v4
	v_sub_co_u32 v5, vcc_lo, v5, v7
	s_wait_alu 0xfffd
	s_delay_alu instid0(VALU_DEP_2) | instskip(SKIP_2) | instid1(VALU_DEP_1)
	v_sub_co_ci_u32_e32 v4, vcc_lo, v6, v4, vcc_lo
	s_and_b32 vcc_lo, exec_lo, s2
	s_wait_kmcnt 0x0
	v_mul_lo_u32 v6, s26, v4
	v_mul_lo_u32 v7, s27, v5
	v_mad_co_u64_u32 v[1:2], null, s26, v5, v[1:2]
	v_mul_lo_u32 v4, s24, v4
	v_mul_lo_u32 v8, s25, v5
	v_mad_co_u64_u32 v[50:51], null, s24, v5, v[50:51]
	s_delay_alu instid0(VALU_DEP_4) | instskip(NEXT) | instid1(VALU_DEP_2)
	v_add3_u32 v2, v7, v2, v6
	v_add3_u32 v51, v8, v51, v4
	s_wait_alu 0xfffe
	s_cbranch_vccnz .LBB0_9
; %bb.7:                                ;   in Loop: Header=BB0_2 Depth=1
	v_dual_mov_b32 v5, v52 :: v_dual_mov_b32 v6, v53
	s_branch .LBB0_2
.LBB0_8:
	v_dual_mov_b32 v51, v2 :: v_dual_mov_b32 v50, v1
	v_dual_mov_b32 v53, v6 :: v_dual_mov_b32 v52, v5
.LBB0_9:
	s_load_b64 s[0:1], s[0:1], 0x28
	v_mul_hi_u32 v3, 0x4924925, v0
	s_lshl_b64 s[10:11], s[10:11], 3
                                        ; implicit-def: $vgpr48
                                        ; implicit-def: $vgpr54
                                        ; implicit-def: $vgpr66
                                        ; implicit-def: $vgpr65
                                        ; implicit-def: $vgpr64
                                        ; implicit-def: $vgpr63
                                        ; implicit-def: $vgpr62
                                        ; implicit-def: $vgpr61
                                        ; implicit-def: $vgpr60
                                        ; implicit-def: $vgpr59
                                        ; implicit-def: $vgpr58
                                        ; implicit-def: $vgpr57
                                        ; implicit-def: $vgpr56
	s_wait_kmcnt 0x0
	v_cmp_gt_u64_e32 vcc_lo, s[0:1], v[52:53]
	v_cmp_le_u64_e64 s0, s[0:1], v[52:53]
	s_delay_alu instid0(VALU_DEP_1)
	s_and_saveexec_b32 s1, s0
	s_wait_alu 0xfffe
	s_xor_b32 s0, exec_lo, s1
	s_cbranch_execz .LBB0_11
; %bb.10:
	v_mul_u32_u24_e32 v1, 56, v3
                                        ; implicit-def: $vgpr3
	s_delay_alu instid0(VALU_DEP_1) | instskip(NEXT) | instid1(VALU_DEP_1)
	v_sub_nc_u32_e32 v48, v0, v1
                                        ; implicit-def: $vgpr0
                                        ; implicit-def: $vgpr1_vgpr2
	v_add_nc_u32_e32 v54, 56, v48
	v_add_nc_u32_e32 v66, 0x70, v48
	;; [unrolled: 1-line block ×7, first 2 shown]
	v_or_b32_e32 v60, 0x1c0, v48
	v_add_nc_u32_e32 v59, 0x1f8, v48
	v_add_nc_u32_e32 v58, 0x230, v48
	;; [unrolled: 1-line block ×4, first 2 shown]
.LBB0_11:
	s_wait_alu 0xfffe
	s_or_saveexec_b32 s1, s0
	s_add_nc_u64 s[2:3], s[14:15], s[10:11]
	s_wait_alu 0xfffe
	s_xor_b32 exec_lo, exec_lo, s1
	s_cbranch_execz .LBB0_13
; %bb.12:
	s_add_nc_u64 s[10:11], s[12:13], s[10:11]
	v_lshlrev_b64_e32 v[1:2], 3, v[1:2]
	s_load_b64 s[10:11], s[10:11], 0x0
	s_wait_kmcnt 0x0
	v_mul_lo_u32 v6, s11, v52
	v_mul_lo_u32 v7, s10, v53
	v_mad_co_u64_u32 v[4:5], null, s10, v52, 0
	s_delay_alu instid0(VALU_DEP_1) | instskip(SKIP_1) | instid1(VALU_DEP_2)
	v_add3_u32 v5, v5, v7, v6
	v_mul_u32_u24_e32 v6, 56, v3
	v_lshlrev_b64_e32 v[3:4], 3, v[4:5]
	s_delay_alu instid0(VALU_DEP_2) | instskip(NEXT) | instid1(VALU_DEP_1)
	v_sub_nc_u32_e32 v48, v0, v6
	v_lshlrev_b32_e32 v49, 3, v48
	s_delay_alu instid0(VALU_DEP_3) | instskip(SKIP_1) | instid1(VALU_DEP_4)
	v_add_co_u32 v0, s0, s4, v3
	s_wait_alu 0xf1ff
	v_add_co_ci_u32_e64 v3, s0, s5, v4, s0
	v_add_nc_u32_e32 v54, 56, v48
	s_delay_alu instid0(VALU_DEP_3) | instskip(SKIP_1) | instid1(VALU_DEP_3)
	v_add_co_u32 v0, s0, v0, v1
	s_wait_alu 0xf1ff
	v_add_co_ci_u32_e64 v1, s0, v3, v2, s0
	v_add_nc_u32_e32 v66, 0x70, v48
	s_delay_alu instid0(VALU_DEP_3) | instskip(SKIP_1) | instid1(VALU_DEP_3)
	v_add_co_u32 v0, s0, v0, v49
	s_wait_alu 0xf1ff
	v_add_co_ci_u32_e64 v1, s0, 0, v1, s0
	s_clause 0x18
	global_load_b64 v[2:3], v[0:1], off
	global_load_b64 v[4:5], v[0:1], off offset:448
	global_load_b64 v[6:7], v[0:1], off offset:896
	;; [unrolled: 1-line block ×24, first 2 shown]
	v_add_nc_u32_e32 v49, 0, v49
	v_add_nc_u32_e32 v65, 0xa8, v48
	;; [unrolled: 1-line block ×6, first 2 shown]
	v_or_b32_e32 v60, 0x1c0, v48
	v_add_nc_u32_e32 v59, 0x1f8, v48
	v_add_nc_u32_e32 v58, 0x230, v48
	;; [unrolled: 1-line block ×11, first 2 shown]
	s_wait_loadcnt 0x17
	ds_store_2addr_b64 v49, v[2:3], v[4:5] offset1:56
	s_wait_loadcnt 0x15
	ds_store_2addr_b64 v49, v[6:7], v[8:9] offset0:112 offset1:168
	s_wait_loadcnt 0x13
	ds_store_2addr_b64 v55, v[10:11], v[12:13] offset0:96 offset1:152
	;; [unrolled: 2-line block ×11, first 2 shown]
	s_wait_loadcnt 0x0
	ds_store_b64 v49, v[0:1] offset:10752
.LBB0_13:
	s_or_b32 exec_lo, exec_lo, s1
	v_lshl_add_u32 v78, v48, 3, 0
	s_load_b64 s[4:5], s[2:3], 0x0
	global_wb scope:SCOPE_SE
	s_wait_dscnt 0x0
	s_wait_kmcnt 0x0
	s_barrier_signal -1
	s_barrier_wait -1
	v_add_nc_u32_e32 v0, 0x1000, v78
	v_add_nc_u32_e32 v5, 0x1400, v78
	global_inv scope:SCOPE_SE
	v_add_nc_u32_e32 v7, 0x800, v78
	ds_load_2addr_b64 v[1:4], v78 offset1:56
	ds_load_2addr_b64 v[10:13], v0 offset0:160 offset1:188
	ds_load_2addr_b64 v[14:17], v5 offset0:116 offset1:172
	;; [unrolled: 1-line block ×3, first 2 shown]
	v_add_nc_u32_e32 v8, 0x1800, v78
	v_add_nc_u32_e32 v5, 0x400, v78
	;; [unrolled: 1-line block ×5, first 2 shown]
	ds_load_2addr_b64 v[22:25], v8 offset0:100 offset1:156
	ds_load_2addr_b64 v[26:29], v5 offset0:96 offset1:152
	;; [unrolled: 1-line block ×9, first 2 shown]
	v_lshl_add_u32 v7, v48, 4, 0
	global_wb scope:SCOPE_SE
	s_wait_dscnt 0x0
	s_barrier_signal -1
	s_barrier_wait -1
	global_inv scope:SCOPE_SE
	v_lshl_add_u32 v86, v61, 4, 0
	v_lshl_add_u32 v87, v60, 4, 0
	;; [unrolled: 1-line block ×5, first 2 shown]
	v_cmp_gt_u32_e64 s0, 28, v48
	v_dual_sub_f32 v5, v1, v12 :: v_dual_sub_f32 v12, v3, v14
	v_dual_sub_f32 v31, v29, v31 :: v_dual_sub_f32 v14, v18, v16
	;; [unrolled: 1-line block ×3, first 2 shown]
	v_sub_f32_e32 v15, v19, v17
	s_delay_alu instid0(VALU_DEP_4) | instskip(NEXT) | instid1(VALU_DEP_4)
	v_fma_f32 v1, v1, 2.0, -v5
	v_fma_f32 v16, v18, 2.0, -v14
	v_sub_f32_e32 v18, v20, v22
	v_sub_f32_e32 v22, v26, v24
	v_fma_f32 v17, v19, 2.0, -v15
	v_sub_f32_e32 v19, v21, v23
	v_sub_f32_e32 v23, v27, v25
	v_fma_f32 v2, v2, 2.0, -v6
	v_fma_f32 v46, v26, 2.0, -v22
	v_sub_f32_e32 v26, v10, v81
	v_dual_sub_f32 v40, v42, v40 :: v_dual_sub_f32 v41, v43, v41
	v_fma_f32 v47, v27, 2.0, -v23
	v_sub_f32_e32 v27, v11, v82
	v_fma_f32 v3, v3, 2.0, -v12
	v_fma_f32 v4, v4, 2.0, -v13
	v_dual_sub_f32 v67, v44, v67 :: v_dual_sub_f32 v68, v45, v68
	v_fma_f32 v24, v10, 2.0, -v26
	v_lshl_add_u32 v10, v54, 4, 0
	v_dual_sub_f32 v30, v28, v30 :: v_dual_sub_f32 v33, v35, v33
	v_dual_sub_f32 v69, v71, v69 :: v_dual_sub_f32 v70, v72, v70
	v_fma_f32 v25, v11, 2.0, -v27
	v_lshl_add_u32 v11, v66, 4, 0
	v_dual_sub_f32 v32, v34, v32 :: v_dual_sub_f32 v75, v73, v79
	v_sub_f32_e32 v76, v74, v80
	v_dual_sub_f32 v38, v36, v38 :: v_dual_sub_f32 v39, v37, v39
	v_fma_f32 v20, v20, 2.0, -v18
	v_fma_f32 v21, v21, 2.0, -v19
	v_fma_f32 v42, v42, 2.0, -v40
	v_fma_f32 v43, v43, 2.0, -v41
	ds_store_2addr_b64 v7, v[1:2], v[5:6] offset1:1
	ds_store_2addr_b64 v10, v[3:4], v[12:13] offset1:1
	;; [unrolled: 1-line block ×3, first 2 shown]
	v_lshl_add_u32 v1, v65, 4, 0
	v_fma_f32 v44, v44, 2.0, -v67
	v_fma_f32 v45, v45, 2.0, -v68
	v_lshl_add_u32 v2, v64, 4, 0
	v_fma_f32 v28, v28, 2.0, -v30
	v_fma_f32 v29, v29, 2.0, -v31
	v_fma_f32 v71, v71, 2.0, -v69
	v_fma_f32 v72, v72, 2.0, -v70
	v_lshl_add_u32 v3, v63, 4, 0
	v_fma_f32 v34, v34, 2.0, -v32
	v_fma_f32 v35, v35, 2.0, -v33
	;; [unrolled: 5-line block ×3, first 2 shown]
	ds_store_2addr_b64 v1, v[20:21], v[18:19] offset1:1
	ds_store_2addr_b64 v2, v[46:47], v[22:23] offset1:1
	;; [unrolled: 1-line block ×9, first 2 shown]
	s_and_saveexec_b32 s1, s0
	s_cbranch_execz .LBB0_15
; %bb.14:
	v_lshl_add_u32 v1, v56, 4, 0
	ds_store_2addr_b64 v1, v[24:25], v[26:27] offset1:1
.LBB0_15:
	s_wait_alu 0xfffe
	s_or_b32 exec_lo, exec_lo, s1
	v_lshlrev_b32_e32 v88, 3, v61
	v_lshl_add_u32 v81, v64, 3, 0
	v_lshlrev_b32_e32 v94, 3, v60
	v_lshl_add_u32 v84, v54, 3, 0
	v_lshl_add_u32 v80, v63, 3, 0
	v_lshlrev_b32_e32 v97, 3, v59
	v_lshl_add_u32 v83, v66, 3, 0
	;; [unrolled: 3-line block ×3, first 2 shown]
	v_sub_nc_u32_e32 v10, v86, v88
	v_lshlrev_b32_e32 v101, 3, v57
	global_wb scope:SCOPE_SE
	s_wait_dscnt 0x0
	s_barrier_signal -1
	s_barrier_wait -1
	global_inv scope:SCOPE_SE
	ds_load_2addr_b64 v[0:3], v0 offset0:188 offset1:244
	ds_load_2addr_b64 v[4:7], v8 offset0:44 offset1:100
	ds_load_b64 v[34:35], v78
	ds_load_b64 v[32:33], v84
	;; [unrolled: 1-line block ×8, first 2 shown]
	v_sub_nc_u32_e32 v10, v87, v94
	v_sub_nc_u32_e32 v11, v85, v97
	;; [unrolled: 1-line block ×4, first 2 shown]
	v_add_nc_u32_e32 v49, 0x2400, v78
	ds_load_b64 v[69:70], v10
	ds_load_b64 v[67:68], v11
	;; [unrolled: 1-line block ×4, first 2 shown]
	ds_load_2addr_b64 v[20:23], v8 offset0:156 offset1:212
	ds_load_2addr_b64 v[16:19], v9 offset0:12 offset1:68
	;; [unrolled: 1-line block ×4, first 2 shown]
	v_lshlrev_b32_e32 v93, 1, v48
	v_lshlrev_b32_e32 v92, 1, v54
	;; [unrolled: 1-line block ×12, first 2 shown]
	v_lshl_add_u32 v77, v56, 3, 0
	s_and_saveexec_b32 s1, s0
	s_cbranch_execz .LBB0_17
; %bb.16:
	ds_load_b64 v[24:25], v77
	ds_load_b64 v[26:27], v78 offset:10976
.LBB0_17:
	s_wait_alu 0xfffe
	s_or_b32 exec_lo, exec_lo, s1
	v_and_b32_e32 v100, 1, v48
	v_sub_nc_u32_e32 v98, 0, v97
	v_sub_nc_u32_e32 v97, 0, v101
	;; [unrolled: 1-line block ×3, first 2 shown]
	s_delay_alu instid0(VALU_DEP_4)
	v_lshlrev_b32_e32 v89, 3, v100
	global_load_b64 v[102:103], v89, s[8:9]
	v_sub_nc_u32_e32 v89, 0, v88
	v_sub_nc_u32_e32 v88, 0, v94
	v_lshlrev_b32_e32 v94, 1, v56
	global_wb scope:SCOPE_SE
	s_wait_loadcnt_dscnt 0x0
	s_barrier_signal -1
	s_barrier_wait -1
	global_inv scope:SCOPE_SE
	v_mul_f32_e32 v117, v103, v3
	v_mul_f32_e32 v138, v103, v10
	;; [unrolled: 1-line block ×6, first 2 shown]
	v_fmac_f32_e32 v138, v102, v11
	v_mul_f32_e32 v136, v103, v8
	v_mul_f32_e32 v139, v27, v103
	v_fmac_f32_e32 v130, v102, v19
	v_mul_f32_e32 v128, v103, v16
	s_delay_alu instid0(VALU_DEP_4)
	v_dual_mul_f32 v133, v103, v15 :: v_dual_fmac_f32 v136, v102, v9
	v_mul_f32_e32 v126, v103, v22
	v_mul_f32_e32 v127, v103, v17
	;; [unrolled: 1-line block ×3, first 2 shown]
	v_dual_mul_f32 v135, v103, v9 :: v_dual_fmac_f32 v134, v102, v15
	v_mul_f32_e32 v132, v103, v12
	v_fmac_f32_e32 v126, v102, v23
	v_fma_f32 v16, v102, v16, -v127
	v_dual_sub_f32 v15, v37, v130 :: v_dual_fmac_f32 v128, v102, v17
	v_fma_f32 v17, v102, v18, -v129
	v_fma_f32 v18, v102, v12, -v131
	v_fma_f32 v19, v102, v14, -v133
	v_dual_mul_f32 v119, v103, v5 :: v_dual_fmac_f32 v118, v102, v3
	v_sub_f32_e32 v12, v38, v16
	s_delay_alu instid0(VALU_DEP_4) | instskip(NEXT) | instid1(VALU_DEP_4)
	v_sub_f32_e32 v16, v69, v18
	v_dual_sub_f32 v18, v67, v19 :: v_dual_sub_f32 v19, v68, v134
	v_dual_mul_f32 v137, v103, v11 :: v_dual_fmac_f32 v132, v102, v13
	v_mul_f32_e32 v122, v103, v6
	v_mul_f32_e32 v115, v103, v1
	;; [unrolled: 1-line block ×3, first 2 shown]
	v_dual_mul_f32 v120, v103, v4 :: v_dual_sub_f32 v3, v33, v118
	v_mul_f32_e32 v121, v103, v7
	v_mul_f32_e32 v125, v103, v23
	v_dual_sub_f32 v13, v39, v128 :: v_dual_sub_f32 v14, v36, v17
	v_sub_f32_e32 v17, v70, v132
	v_dual_mul_f32 v123, v103, v21 :: v_dual_fmac_f32 v122, v102, v7
	v_dual_mul_f32 v124, v103, v20 :: v_dual_mul_f32 v103, v26, v103
	v_fma_f32 v0, v102, v0, -v115
	s_delay_alu instid0(VALU_DEP_3) | instskip(SKIP_1) | instid1(VALU_DEP_4)
	v_dual_fmac_f32 v116, v102, v1 :: v_dual_sub_f32 v7, v29, v122
	v_fma_f32 v26, v26, v102, -v139
	v_fmac_f32_e32 v103, v27, v102
	v_fma_f32 v2, v102, v2, -v117
	v_fma_f32 v4, v102, v4, -v119
	v_fmac_f32_e32 v120, v102, v5
	v_fma_f32 v6, v102, v6, -v121
	v_fma_f32 v20, v102, v20, -v123
	v_fmac_f32_e32 v124, v102, v21
	v_and_or_b32 v101, 0x7c, v93, v100
	v_fma_f32 v21, v102, v22, -v125
	v_fma_f32 v22, v102, v8, -v135
	v_fma_f32 v23, v102, v10, -v137
	v_dual_sub_f32 v0, v34, v0 :: v_dual_sub_f32 v11, v43, v126
	v_dual_sub_f32 v1, v35, v116 :: v_dual_sub_f32 v2, v32, v2
	;; [unrolled: 1-line block ×3, first 2 shown]
	v_and_or_b32 v104, 0xfc, v92, v100
	v_and_or_b32 v105, 0x1fc, v91, v100
	v_sub_f32_e32 v4, v30, v4
	v_dual_sub_f32 v5, v31, v120 :: v_dual_sub_f32 v6, v28, v6
	v_and_or_b32 v106, 0x1fc, v90, v100
	v_and_or_b32 v107, 0x3fc, v76, v100
	v_sub_f32_e32 v8, v46, v20
	v_dual_sub_f32 v9, v47, v124 :: v_dual_sub_f32 v10, v42, v21
	v_and_or_b32 v108, 0x2fc, v75, v100
	v_and_or_b32 v109, 0x3fc, v74, v100
	;; [unrolled: 1-line block ×7, first 2 shown]
	v_lshl_add_u32 v101, v101, 3, 0
	v_dual_sub_f32 v20, v44, v22 :: v_dual_sub_f32 v21, v45, v136
	v_dual_sub_f32 v22, v40, v23 :: v_dual_sub_f32 v23, v41, v138
	v_fma_f32 v34, v34, 2.0, -v0
	v_fma_f32 v35, v35, 2.0, -v1
	;; [unrolled: 1-line block ×4, first 2 shown]
	v_lshl_add_u32 v104, v104, 3, 0
	v_fma_f32 v32, v32, 2.0, -v2
	v_fma_f32 v33, v33, 2.0, -v3
	v_lshl_add_u32 v105, v105, 3, 0
	v_fma_f32 v30, v30, 2.0, -v4
	v_fma_f32 v31, v31, 2.0, -v5
	;; [unrolled: 3-line block ×4, first 2 shown]
	v_lshl_add_u32 v108, v108, 3, 0
	v_lshl_add_u32 v109, v109, 3, 0
	;; [unrolled: 1-line block ×7, first 2 shown]
	v_fma_f32 v42, v42, 2.0, -v10
	v_fma_f32 v43, v43, 2.0, -v11
	;; [unrolled: 1-line block ×14, first 2 shown]
	ds_store_2addr_b64 v101, v[34:35], v[0:1] offset1:2
	ds_store_2addr_b64 v104, v[32:33], v[2:3] offset1:2
	;; [unrolled: 1-line block ×12, first 2 shown]
	s_and_saveexec_b32 s1, s0
	s_cbranch_execz .LBB0_19
; %bb.18:
	v_and_or_b32 v0, 0x57c, v94, v100
	s_delay_alu instid0(VALU_DEP_1)
	v_lshl_add_u32 v0, v0, 3, 0
	ds_store_2addr_b64 v0, v[24:25], v[26:27] offset1:2
.LBB0_19:
	s_wait_alu 0xfffe
	s_or_b32 exec_lo, exec_lo, s1
	v_add_nc_u32_e32 v0, 0x1000, v78
	v_add_nc_u32_e32 v16, 0x2000, v78
	;; [unrolled: 1-line block ×9, first 2 shown]
	global_wb scope:SCOPE_SE
	s_wait_dscnt 0x0
	s_barrier_signal -1
	s_barrier_wait -1
	global_inv scope:SCOPE_SE
	ds_load_2addr_b64 v[4:7], v0 offset0:188 offset1:244
	ds_load_2addr_b64 v[0:3], v8 offset0:44 offset1:100
	ds_load_b64 v[36:37], v78
	ds_load_b64 v[32:33], v84
	ds_load_b64 v[30:31], v83
	ds_load_b64 v[28:29], v82
	ds_load_2addr_b64 v[8:11], v8 offset0:156 offset1:212
	ds_load_2addr_b64 v[12:15], v16 offset0:12 offset1:68
	ds_load_b64 v[42:43], v81
	ds_load_b64 v[40:41], v80
	ds_load_b64 v[38:39], v79
	ds_load_b64 v[34:35], v89
	;; [unrolled: 6-line block ×3, first 2 shown]
	s_and_saveexec_b32 s1, s0
	s_cbranch_execz .LBB0_21
; %bb.20:
	ds_load_b64 v[24:25], v77
	ds_load_b64 v[26:27], v78 offset:10976
.LBB0_21:
	s_wait_alu 0xfffe
	s_or_b32 exec_lo, exec_lo, s1
	v_and_b32_e32 v95, 3, v48
	s_delay_alu instid0(VALU_DEP_1)
	v_lshlrev_b32_e32 v96, 3, v95
	global_load_b64 v[96:97], v96, s[8:9] offset:16
	global_wb scope:SCOPE_SE
	s_wait_loadcnt_dscnt 0x0
	s_barrier_signal -1
	s_barrier_wait -1
	global_inv scope:SCOPE_SE
	v_mul_f32_e32 v99, v97, v4
	v_mul_f32_e32 v98, v97, v5
	;; [unrolled: 1-line block ×3, first 2 shown]
	v_dual_mul_f32 v101, v97, v6 :: v_dual_mul_f32 v122, v27, v97
	v_mul_f32_e32 v102, v97, v1
	v_dual_mul_f32 v104, v97, v3 :: v_dual_fmac_f32 v99, v96, v5
	v_fma_f32 v4, v96, v4, -v98
	v_mul_f32_e32 v105, v97, v2
	v_mul_f32_e32 v106, v97, v9
	;; [unrolled: 1-line block ×16, first 2 shown]
	v_fmac_f32_e32 v101, v96, v7
	v_fma_f32 v2, v96, v2, -v104
	v_mul_f32_e32 v111, v97, v12
	v_dual_mul_f32 v116, v97, v19 :: v_dual_mul_f32 v97, v26, v97
	v_fma_f32 v5, v96, v6, -v100
	v_fma_f32 v6, v96, v0, -v102
	v_sub_f32_e32 v0, v36, v4
	v_fmac_f32_e32 v105, v96, v3
	v_fma_f32 v3, v96, v8, -v106
	v_sub_f32_e32 v4, v32, v5
	v_fmac_f32_e32 v103, v96, v1
	v_fma_f32 v98, v96, v10, -v108
	v_fma_f32 v108, v96, v20, -v118
	v_dual_sub_f32 v6, v30, v6 :: v_dual_fmac_f32 v107, v96, v9
	v_fma_f32 v102, v96, v14, -v112
	v_fma_f32 v112, v26, v96, -v122
	v_sub_f32_e32 v10, v42, v3
	v_fmac_f32_e32 v109, v96, v11
	v_fma_f32 v100, v96, v12, -v110
	v_and_or_b32 v93, 0x78, v93, v95
	v_dual_sub_f32 v1, v37, v99 :: v_dual_sub_f32 v8, v28, v2
	v_fmac_f32_e32 v111, v96, v13
	v_fma_f32 v106, v96, v18, -v116
	v_sub_f32_e32 v12, v40, v98
	v_fmac_f32_e32 v115, v96, v17
	v_fma_f32 v110, v96, v22, -v120
	v_fmac_f32_e32 v97, v27, v96
	v_dual_sub_f32 v14, v38, v100 :: v_dual_fmac_f32 v113, v96, v15
	v_fma_f32 v104, v96, v16, -v114
	s_delay_alu instid0(VALU_DEP_4) | instskip(SKIP_2) | instid1(VALU_DEP_4)
	v_sub_f32_e32 v26, v44, v110
	v_dual_sub_f32 v16, v34, v102 :: v_dual_fmac_f32 v119, v96, v21
	v_sub_f32_e32 v22, v46, v108
	v_dual_sub_f32 v18, v69, v104 :: v_dual_fmac_f32 v117, v96, v19
	v_sub_f32_e32 v2, v24, v112
	v_dual_fmac_f32 v121, v96, v23 :: v_dual_sub_f32 v20, v67, v106
	v_and_or_b32 v92, 0xf8, v92, v95
	v_sub_f32_e32 v5, v33, v101
	v_and_or_b32 v91, 0x1f8, v91, v95
	v_sub_f32_e32 v7, v31, v103
	;; [unrolled: 2-line block ×4, first 2 shown]
	v_and_or_b32 v75, 0x2f8, v75, v95
	v_and_or_b32 v74, 0x3f8, v74, v95
	;; [unrolled: 1-line block ×7, first 2 shown]
	v_lshl_add_u32 v93, v93, 3, 0
	v_sub_f32_e32 v13, v41, v109
	v_sub_f32_e32 v15, v39, v111
	;; [unrolled: 1-line block ×8, first 2 shown]
	v_fma_f32 v36, v36, 2.0, -v0
	v_fma_f32 v37, v37, 2.0, -v1
	v_lshl_add_u32 v92, v92, 3, 0
	v_fma_f32 v32, v32, 2.0, -v4
	v_fma_f32 v33, v33, 2.0, -v5
	v_lshl_add_u32 v91, v91, 3, 0
	;; [unrolled: 3-line block ×5, first 2 shown]
	v_lshl_add_u32 v74, v74, 3, 0
	v_lshl_add_u32 v73, v73, 3, 0
	;; [unrolled: 1-line block ×6, first 2 shown]
	v_fma_f32 v40, v40, 2.0, -v12
	v_fma_f32 v41, v41, 2.0, -v13
	;; [unrolled: 1-line block ×14, first 2 shown]
	ds_store_2addr_b64 v93, v[36:37], v[0:1] offset1:4
	ds_store_2addr_b64 v92, v[32:33], v[4:5] offset1:4
	;; [unrolled: 1-line block ×12, first 2 shown]
	s_and_saveexec_b32 s1, s0
	s_cbranch_execz .LBB0_23
; %bb.22:
	v_and_or_b32 v0, 0x578, v94, v95
	v_fma_f32 v1, v25, 2.0, -v3
	s_delay_alu instid0(VALU_DEP_2)
	v_lshl_add_u32 v4, v0, 3, 0
	v_fma_f32 v0, v24, 2.0, -v2
	ds_store_2addr_b64 v4, v[0:1], v[2:3] offset1:4
.LBB0_23:
	s_wait_alu 0xfffe
	s_or_b32 exec_lo, exec_lo, s1
	v_and_b32_e32 v16, 7, v48
	global_wb scope:SCOPE_SE
	s_wait_dscnt 0x0
	s_barrier_signal -1
	s_barrier_wait -1
	global_inv scope:SCOPE_SE
	v_lshlrev_b32_e32 v0, 5, v16
	v_cmp_gt_u32_e64 s1, 32, v48
	s_clause 0x1
	global_load_b128 v[37:40], v0, s[8:9] offset:48
	global_load_b128 v[41:44], v0, s[8:9] offset:64
	ds_load_b64 v[24:25], v80
	ds_load_b64 v[29:30], v86
	v_add_nc_u32_e32 v49, 0x1800, v78
	v_add_nc_u32_e32 v32, 0x2000, v78
	;; [unrolled: 1-line block ×4, first 2 shown]
	s_wait_loadcnt_dscnt 0x100
	v_dual_mul_f32 v45, v38, v24 :: v_dual_mul_f32 v46, v40, v29
	ds_load_2addr_b64 v[67:70], v49 offset0:72 offset1:128
	ds_load_2addr_b64 v[71:74], v32 offset0:40 offset1:96
	;; [unrolled: 1-line block ×4, first 2 shown]
	ds_load_b64 v[14:15], v78
	ds_load_b64 v[12:13], v84
	;; [unrolled: 1-line block ×4, first 2 shown]
	v_add_nc_u32_e32 v0, 0x1400, v78
	v_add_nc_u32_e32 v1, 0x2800, v78
	v_mul_f32_e32 v31, v38, v25
	v_mul_f32_e32 v35, v40, v30
	v_fmac_f32_e32 v45, v37, v25
	s_delay_alu instid0(VALU_DEP_2)
	v_fma_f32 v132, v39, v29, -v35
	s_wait_loadcnt_dscnt 0x7
	v_mul_f32_e32 v118, v70, v42
	s_wait_dscnt 0x6
	v_mul_f32_e32 v47, v74, v44
	v_mul_f32_e32 v5, v73, v44
	ds_load_2addr_b64 v[98:101], v32 offset0:152 offset1:208
	ds_load_b64 v[6:7], v81
	ds_load_2addr_b64 v[102:105], v49 offset0:184 offset1:240
	ds_load_2addr_b64 v[106:109], v34 offset0:192 offset1:248
	;; [unrolled: 1-line block ×4, first 2 shown]
	s_wait_dscnt 0xa
	v_mul_f32_e32 v1, v96, v40
	v_mul_f32_e32 v36, v68, v42
	;; [unrolled: 1-line block ×3, first 2 shown]
	v_dual_mul_f32 v55, v91, v38 :: v_dual_mul_f32 v122, v97, v40
	v_dual_mul_f32 v75, v90, v38 :: v_dual_mul_f32 v76, v95, v40
	v_mul_f32_e32 v0, v94, v40
	v_mul_f32_e32 v26, v69, v42
	;; [unrolled: 1-line block ×4, first 2 shown]
	v_fmac_f32_e32 v5, v74, v43
	global_wb scope:SCOPE_SE
	s_wait_dscnt 0x0
	s_barrier_signal -1
	v_mul_f32_e32 v119, v99, v44
	v_mul_f32_e32 v21, v98, v44
	v_dual_mul_f32 v123, v103, v42 :: v_dual_mul_f32 v22, v100, v44
	v_dual_mul_f32 v27, v102, v42 :: v_dual_mul_f32 v130, v115, v44
	;; [unrolled: 1-line block ×5, first 2 shown]
	v_mul_f32_e32 v128, v110, v40
	v_dual_mul_f32 v28, v104, v42 :: v_dual_mul_f32 v23, v114, v44
	v_dual_mul_f32 v131, v109, v38 :: v_dual_mul_f32 v20, v116, v44
	v_dual_mul_f32 v17, v108, v38 :: v_dual_mul_f32 v38, v113, v40
	v_dual_mul_f32 v40, v72, v42 :: v_dual_fmac_f32 v75, v91, v37
	v_dual_mul_f32 v19, v71, v42 :: v_dual_fmac_f32 v4, v68, v41
	v_mul_f32_e32 v42, v117, v44
	v_fma_f32 v44, v37, v24, -v31
	v_dual_fmac_f32 v46, v39, v30 :: v_dual_fmac_f32 v121, v93, v37
	v_fma_f32 v67, v67, v41, -v36
	v_fma_f32 v36, v73, v43, -v47
	;; [unrolled: 1-line block ×4, first 2 shown]
	v_dual_fmac_f32 v0, v95, v39 :: v_dual_fmac_f32 v17, v109, v37
	v_fma_f32 v68, v69, v41, -v118
	v_dual_fmac_f32 v26, v70, v41 :: v_dual_fmac_f32 v21, v99, v43
	v_fma_f32 v35, v98, v43, -v119
	v_fma_f32 v69, v92, v37, -v120
	;; [unrolled: 1-line block ×3, first 2 shown]
	v_dual_fmac_f32 v1, v97, v39 :: v_dual_fmac_f32 v126, v107, v37
	v_fma_f32 v76, v102, v41, -v123
	v_fma_f32 v31, v100, v43, -v124
	;; [unrolled: 1-line block ×6, first 2 shown]
	v_dual_fmac_f32 v27, v103, v41 :: v_dual_fmac_f32 v22, v101, v43
	v_dual_fmac_f32 v128, v111, v39 :: v_dual_fmac_f32 v19, v72, v41
	;; [unrolled: 1-line block ×3, first 2 shown]
	v_fma_f32 v91, v108, v37, -v131
	v_fma_f32 v24, v112, v39, -v38
	v_dual_fmac_f32 v18, v113, v39 :: v_dual_add_f32 v37, v14, v44
	v_fma_f32 v25, v71, v41, -v40
	v_fma_f32 v29, v116, v43, -v42
	v_dual_fmac_f32 v20, v117, v43 :: v_dual_sub_f32 v39, v44, v132
	v_dual_add_f32 v38, v132, v67 :: v_dual_sub_f32 v95, v45, v5
	v_dual_sub_f32 v96, v46, v4 :: v_dual_add_f32 v71, v15, v45
	v_dual_sub_f32 v40, v36, v67 :: v_dual_sub_f32 v43, v67, v36
	v_add_f32_e32 v41, v44, v36
	v_dual_sub_f32 v42, v132, v44 :: v_dual_add_f32 v93, v45, v5
	v_dual_add_f32 v72, v46, v4 :: v_dual_add_f32 v99, v12, v47
	v_dual_sub_f32 v97, v44, v36 :: v_dual_sub_f32 v106, v55, v47
	v_sub_f32_e32 v98, v132, v67
	v_dual_sub_f32 v44, v45, v46 :: v_dual_sub_f32 v45, v46, v45
	v_dual_sub_f32 v92, v5, v4 :: v_dual_sub_f32 v101, v75, v21
	;; [unrolled: 1-line block ×3, first 2 shown]
	v_dual_add_f32 v100, v55, v68 :: v_dual_sub_f32 v107, v68, v35
	v_dual_sub_f32 v102, v0, v26 :: v_dual_add_f32 v105, v47, v35
	v_dual_sub_f32 v104, v35, v68 :: v_dual_add_f32 v109, v0, v26
	v_dual_add_f32 v108, v13, v75 :: v_dual_sub_f32 v111, v75, v0
	v_sub_f32_e32 v110, v55, v68
	v_dual_add_f32 v113, v75, v21 :: v_dual_add_f32 v116, v70, v76
	v_dual_sub_f32 v75, v0, v75 :: v_dual_sub_f32 v114, v26, v21
	v_sub_f32_e32 v117, v121, v22
	v_dual_add_f32 v115, v10, v69 :: v_dual_sub_f32 v118, v1, v27
	v_dual_sub_f32 v119, v69, v70 :: v_dual_sub_f32 v120, v31, v76
	v_dual_add_f32 v122, v69, v31 :: v_dual_sub_f32 v123, v70, v69
	v_dual_sub_f32 v129, v69, v31 :: v_dual_sub_f32 v134, v27, v22
	v_dual_sub_f32 v69, v121, v1 :: v_dual_add_f32 v136, v74, v90
	v_dual_add_f32 v135, v8, v73 :: v_dual_add_f32 v144, v9, v126
	v_dual_add_f32 v141, v73, v30 :: v_dual_add_f32 v150, v39, v40
	v_dual_sub_f32 v47, v47, v35 :: v_dual_sub_f32 v112, v21, v26
	v_dual_sub_f32 v124, v76, v31 :: v_dual_add_f32 v125, v11, v121
	v_dual_add_f32 v127, v1, v27 :: v_dual_sub_f32 v130, v70, v76
	v_dual_sub_f32 v131, v22, v27 :: v_dual_sub_f32 v138, v128, v28
	v_dual_add_f32 v133, v121, v22 :: v_dual_sub_f32 v142, v74, v73
	v_dual_sub_f32 v121, v1, v121 :: v_dual_sub_f32 v140, v30, v90
	v_dual_sub_f32 v137, v126, v23 :: v_dual_sub_f32 v146, v73, v30
	;; [unrolled: 1-line block ×3, first 2 shown]
	v_dual_sub_f32 v143, v90, v30 :: v_dual_add_f32 v132, v37, v132
	v_dual_add_f32 v145, v128, v28 :: v_dual_add_f32 v152, v42, v43
	v_sub_f32_e32 v73, v126, v128
	v_dual_add_f32 v149, v126, v23 :: v_dual_add_f32 v46, v71, v46
	v_sub_f32_e32 v126, v128, v126
	v_fma_f32 v37, -0.5, v38, v14
	v_fma_f32 v14, -0.5, v41, v14
	v_sub_f32_e32 v151, v28, v23
	v_add_f32_e32 v153, v6, v91
	v_dual_add_f32 v71, v24, v25 :: v_dual_sub_f32 v156, v18, v19
	v_fma_f32 v38, -0.5, v72, v15
	v_add_f32_e32 v155, v44, v92
	v_dual_fmac_f32 v15, -0.5, v93 :: v_dual_sub_f32 v72, v91, v24
	v_dual_add_f32 v157, v45, v94 :: v_dual_add_f32 v94, v18, v19
	v_sub_f32_e32 v45, v29, v25
	v_add_f32_e32 v55, v99, v55
	v_add_f32_e32 v92, v91, v29
	v_fma_f32 v39, -0.5, v100, v12
	v_fma_f32 v12, -0.5, v105, v12
	v_add_f32_e32 v93, v108, v0
	v_fma_f32 v40, -0.5, v109, v13
	v_add_f32_e32 v108, v75, v114
	v_add_f32_e32 v114, v135, v74
	;; [unrolled: 1-line block ×4, first 2 shown]
	v_fma_f32 v43, -0.5, v136, v8
	v_fma_f32 v8, -0.5, v141, v8
	v_add_f32_e32 v119, v144, v128
	v_dual_add_f32 v99, v103, v104 :: v_dual_sub_f32 v100, v24, v91
	v_dual_add_f32 v103, v106, v107 :: v_dual_sub_f32 v106, v91, v29
	v_add_f32_e32 v105, v7, v17
	v_add_f32_e32 v107, v111, v112
	v_fmac_f32_e32 v13, -0.5, v113
	v_fma_f32 v41, -0.5, v116, v10
	v_fma_f32 v10, -0.5, v122, v10
	v_add_f32_e32 v122, v153, v24
	v_add_f32_e32 v111, v123, v124
	v_dual_add_f32 v91, v125, v1 :: v_dual_add_f32 v124, v46, v4
	v_fma_f32 v42, -0.5, v127, v11
	v_dual_add_f32 v112, v69, v131 :: v_dual_fmac_f32 v11, -0.5, v133
	v_dual_add_f32 v113, v121, v134 :: v_dual_fmamk_f32 v70, v98, 0x3f737871, v15
	v_add_f32_e32 v115, v139, v140
	v_add_f32_e32 v120, v73, v148
	v_fma_f32 v0, -0.5, v71, v6
	v_add_f32_e32 v123, v72, v45
	v_fma_f32 v6, -0.5, v92, v6
	v_fma_f32 v1, -0.5, v94, v7
	v_add_f32_e32 v94, v132, v67
	v_fmamk_f32 v69, v96, 0xbf737871, v14
	v_fmac_f32_e32 v14, 0x3f737871, v96
	v_dual_fmac_f32 v15, 0xbf737871, v98 :: v_dual_fmamk_f32 v92, v138, 0xbf737871, v8
	v_add_f32_e32 v55, v55, v68
	v_dual_fmamk_f32 v71, v101, 0x3f737871, v39 :: v_dual_fmac_f32 v8, 0x3f737871, v138
	v_dual_add_f32 v68, v93, v26 :: v_dual_fmamk_f32 v73, v102, 0xbf737871, v12
	v_fmac_f32_e32 v12, 0x3f737871, v102
	v_dual_fmamk_f32 v72, v47, 0xbf737871, v40 :: v_dual_fmac_f32 v39, 0xbf737871, v101
	v_add_f32_e32 v28, v119, v28
	v_dual_add_f32 v125, v75, v76 :: v_dual_fmamk_f32 v76, v130, 0x3f737871, v11
	v_dual_sub_f32 v147, v74, v90 :: v_dual_sub_f32 v154, v17, v20
	v_sub_f32_e32 v104, v25, v29
	v_add_f32_e32 v116, v142, v143
	v_fma_f32 v44, -0.5, v145, v9
	v_dual_fmac_f32 v9, -0.5, v149 :: v_dual_fmac_f32 v40, 0x3f737871, v47
	v_dual_add_f32 v121, v126, v151 :: v_dual_fmamk_f32 v26, v117, 0x3f737871, v41
	v_fmamk_f32 v45, v95, 0x3f737871, v37
	v_dual_fmac_f32 v37, 0xbf737871, v95 :: v_dual_add_f32 v114, v114, v90
	v_fmamk_f32 v74, v110, 0x3f737871, v13
	v_dual_fmac_f32 v13, 0xbf737871, v110 :: v_dual_fmamk_f32 v4, v156, 0xbf737871, v6
	v_dual_fmamk_f32 v75, v118, 0xbf737871, v10 :: v_dual_add_f32 v126, v91, v27
	v_dual_fmamk_f32 v27, v129, 0xbf737871, v42 :: v_dual_add_f32 v94, v94, v36
	v_dual_fmamk_f32 v90, v137, 0x3f737871, v43 :: v_dual_add_f32 v119, v122, v25
	v_add_f32_e32 v36, v68, v21
	v_dual_fmac_f32 v72, 0xbf167918, v110 :: v_dual_add_f32 v21, v125, v31
	v_dual_fmac_f32 v8, 0xbf167918, v137 :: v_dual_add_f32 v31, v28, v23
	v_dual_fmac_f32 v6, 0x3f737871, v156 :: v_dual_sub_f32 v25, v24, v25
	v_add_f32_e32 v28, v105, v18
	v_dual_fmamk_f32 v46, v97, 0xbf737871, v38 :: v_dual_fmac_f32 v41, 0xbf737871, v117
	v_fmac_f32_e32 v11, 0xbf737871, v130
	v_dual_fmamk_f32 v91, v146, 0xbf737871, v44 :: v_dual_sub_f32 v24, v17, v18
	v_dual_fmac_f32 v44, 0x3f737871, v146 :: v_dual_fmamk_f32 v93, v147, 0x3f737871, v9
	v_dual_fmac_f32 v37, 0xbf167918, v96 :: v_dual_fmac_f32 v14, 0xbf167918, v95
	v_dual_fmac_f32 v69, 0x3f167918, v95 :: v_dual_fmac_f32 v40, 0x3f167918, v110
	v_dual_add_f32 v95, v124, v5 :: v_dual_fmac_f32 v46, 0xbf167918, v98
	v_dual_fmac_f32 v13, 0x3f167918, v47 :: v_dual_fmac_f32 v90, 0x3f167918, v138
	s_delay_alu instid0(VALU_DEP_4)
	v_dual_add_f32 v23, v119, v29 :: v_dual_fmac_f32 v14, 0x3e9e377a, v152
	v_dual_add_f32 v5, v100, v104 :: v_dual_fmamk_f32 v68, v106, 0xbf737871, v1
	v_dual_sub_f32 v29, v20, v19 :: v_dual_fmac_f32 v6, 0xbf167918, v154
	v_dual_add_f32 v28, v28, v19 :: v_dual_fmamk_f32 v67, v154, 0x3f737871, v0
	v_fmac_f32_e32 v0, 0xbf737871, v154
	v_dual_fmac_f32 v74, 0xbf167918, v47 :: v_dual_fmac_f32 v41, 0xbf167918, v118
	s_delay_alu instid0(VALU_DEP_4)
	v_dual_add_f32 v47, v17, v20 :: v_dual_fmac_f32 v6, 0x3e9e377a, v5
	v_dual_fmac_f32 v9, 0xbf737871, v147 :: v_dual_add_f32 v30, v114, v30
	v_dual_fmac_f32 v11, 0x3f167918, v129 :: v_dual_fmac_f32 v4, 0x3f167918, v154
	v_dual_fmac_f32 v93, 0xbf167918, v146 :: v_dual_fmac_f32 v68, 0xbf167918, v25
	v_add_f32_e32 v29, v24, v29
	v_dual_fmac_f32 v7, -0.5, v47 :: v_dual_add_f32 v24, v28, v20
	v_fmac_f32_e32 v67, 0x3f167918, v156
	v_fmac_f32_e32 v9, 0x3f167918, v146
	;; [unrolled: 1-line block ×4, first 2 shown]
	v_fmamk_f32 v5, v25, 0x3f737871, v7
	v_fmac_f32_e32 v67, 0x3e9e377a, v123
	v_dual_sub_f32 v17, v18, v17 :: v_dual_sub_f32 v18, v19, v20
	v_fmac_f32_e32 v7, 0xbf737871, v25
	v_lshrrev_b32_e32 v19, 3, v48
	v_fmac_f32_e32 v5, 0xbf167918, v106
	v_fmac_f32_e32 v1, 0x3f737871, v106
	v_add_f32_e32 v17, v17, v18
	v_fmac_f32_e32 v7, 0x3f167918, v106
	v_mul_u32_u24_e32 v18, 40, v19
	v_lshrrev_b32_e32 v19, 3, v54
	v_fmac_f32_e32 v38, 0x3f737871, v97
	v_fmac_f32_e32 v5, 0x3e9e377a, v17
	;; [unrolled: 1-line block ×3, first 2 shown]
	v_or_b32_e32 v17, v18, v16
	v_mul_lo_u32 v18, v19, 40
	v_lshrrev_b32_e32 v19, 3, v66
	v_lshrrev_b32_e32 v20, 3, v65
	v_fmac_f32_e32 v10, 0x3f737871, v118
	v_fmac_f32_e32 v42, 0x3f737871, v129
	v_dual_fmac_f32 v45, 0x3f167918, v96 :: v_dual_fmac_f32 v38, 0x3f167918, v98
	v_dual_fmac_f32 v70, 0xbf167918, v97 :: v_dual_add_f32 v35, v55, v35
	v_dual_fmac_f32 v15, 0x3f167918, v97 :: v_dual_fmac_f32 v26, 0x3f167918, v118
	v_fmac_f32_e32 v1, 0x3f167918, v25
	v_mul_lo_u32 v19, v19, 40
	v_lshrrev_b32_e32 v25, 3, v64
	v_dual_fmac_f32 v71, 0x3f167918, v102 :: v_dual_fmac_f32 v92, 0x3f167918, v137
	v_or_b32_e32 v18, v18, v16
	v_mul_lo_u32 v20, v20, 40
	v_dual_fmac_f32 v39, 0xbf167918, v102 :: v_dual_fmac_f32 v12, 0xbf167918, v101
	v_dual_fmac_f32 v73, 0x3f167918, v101 :: v_dual_fmac_f32 v42, 0x3f167918, v130
	;; [unrolled: 1-line block ×4, first 2 shown]
	s_delay_alu instid0(VALU_DEP_4)
	v_dual_fmac_f32 v15, 0x3e9e377a, v157 :: v_dual_fmac_f32 v12, 0x3e9e377a, v103
	v_lshl_add_u32 v17, v17, 3, 0
	v_mul_lo_u32 v25, v25, 40
	v_dual_fmac_f32 v43, 0xbf737871, v137 :: v_dual_add_f32 v22, v126, v22
	v_dual_fmac_f32 v37, 0x3e9e377a, v150 :: v_dual_fmac_f32 v38, 0x3e9e377a, v155
	v_dual_fmac_f32 v71, 0x3e9e377a, v99 :: v_dual_fmac_f32 v74, 0x3e9e377a, v108
	;; [unrolled: 1-line block ×3, first 2 shown]
	v_lshl_add_u32 v18, v18, 3, 0
	v_dual_fmac_f32 v10, 0xbf167918, v117 :: v_dual_fmac_f32 v27, 0xbf167918, v130
	v_dual_fmac_f32 v73, 0x3e9e377a, v103 :: v_dual_fmac_f32 v42, 0x3e9e377a, v112
	v_or_b32_e32 v19, v19, v16
	v_dual_fmac_f32 v75, 0x3f167918, v117 :: v_dual_fmac_f32 v44, 0x3f167918, v147
	v_dual_fmac_f32 v76, 0xbf167918, v129 :: v_dual_fmac_f32 v43, 0xbf167918, v138
	;; [unrolled: 1-line block ×3, first 2 shown]
	s_barrier_wait -1
	global_inv scope:SCOPE_SE
	ds_store_2addr_b64 v17, v[94:95], v[45:46] offset1:8
	ds_store_2addr_b64 v17, v[69:70], v[14:15] offset0:16 offset1:24
	ds_store_b64 v17, v[37:38] offset:256
	ds_store_2addr_b64 v18, v[35:36], v[71:72] offset1:8
	v_or_b32_e32 v14, v20, v16
	v_dual_fmac_f32 v39, 0x3e9e377a, v99 :: v_dual_fmac_f32 v26, 0x3e9e377a, v109
	v_dual_fmac_f32 v40, 0x3e9e377a, v107 :: v_dual_fmac_f32 v41, 0x3e9e377a, v109
	v_dual_fmac_f32 v10, 0x3e9e377a, v111 :: v_dual_fmac_f32 v27, 0x3e9e377a, v112
	v_lshl_add_u32 v15, v19, 3, 0
	ds_store_2addr_b64 v18, v[73:74], v[12:13] offset0:16 offset1:24
	v_or_b32_e32 v12, v25, v16
	v_dual_fmac_f32 v75, 0x3e9e377a, v111 :: v_dual_fmac_f32 v76, 0x3e9e377a, v113
	v_dual_fmac_f32 v11, 0x3e9e377a, v113 :: v_dual_fmac_f32 v90, 0x3e9e377a, v115
	;; [unrolled: 1-line block ×3, first 2 shown]
	v_lshl_add_u32 v13, v14, 3, 0
	v_dual_fmac_f32 v43, 0x3e9e377a, v115 :: v_dual_fmac_f32 v92, 0x3e9e377a, v116
	v_dual_fmac_f32 v8, 0x3e9e377a, v116 :: v_dual_fmac_f32 v93, 0x3e9e377a, v121
	;; [unrolled: 1-line block ×3, first 2 shown]
	ds_store_b64 v18, v[39:40] offset:256
	ds_store_2addr_b64 v15, v[21:22], v[26:27] offset1:8
	ds_store_2addr_b64 v15, v[75:76], v[10:11] offset0:16 offset1:24
	v_lshl_add_u32 v10, v12, 3, 0
	v_fmac_f32_e32 v1, 0x3e9e377a, v29
	ds_store_b64 v15, v[41:42] offset:256
	ds_store_2addr_b64 v13, v[30:31], v[90:91] offset1:8
	ds_store_2addr_b64 v13, v[92:93], v[8:9] offset0:16 offset1:24
	ds_store_b64 v13, v[43:44] offset:256
	ds_store_2addr_b64 v10, v[23:24], v[67:68] offset1:8
	ds_store_2addr_b64 v10, v[4:5], v[6:7] offset0:16 offset1:24
	ds_store_b64 v10, v[0:1] offset:256
	global_wb scope:SCOPE_SE
	s_wait_dscnt 0x0
	s_barrier_signal -1
	s_barrier_wait -1
	global_inv scope:SCOPE_SE
	ds_load_2addr_b64 v[12:15], v78 offset1:200
	ds_load_2addr_b64 v[24:27], v34 offset0:144 offset1:200
	ds_load_2addr_b64 v[16:19], v33 offset1:88
	ds_load_2addr_b64 v[28:31], v49 offset0:32 offset1:88
	ds_load_2addr_b64 v[20:23], v49 offset0:144 offset1:232
	;; [unrolled: 1-line block ×3, first 2 shown]
	ds_load_2addr_b64 v[44:47], v34 offset1:56
	ds_load_2addr_b64 v[40:43], v33 offset0:144 offset1:200
	ds_load_2addr_b64 v[32:35], v32 offset0:32 offset1:88
	ds_load_b64 v[71:72], v83
	ds_load_b64 v[73:74], v84
	ds_load_b64 v[75:76], v78 offset:10496
                                        ; implicit-def: $vgpr11
	s_and_saveexec_b32 s2, s1
	s_cbranch_execz .LBB0_25
; %bb.24:
	v_add_nc_u32_e32 v4, 0xa00, v78
	v_add_nc_u32_e32 v8, 0x2400, v78
	ds_load_b64 v[67:68], v82
	ds_load_2addr_b64 v[0:3], v49 offset1:200
	ds_load_2addr_b64 v[4:7], v4 offset0:48 offset1:248
	ds_load_2addr_b64 v[8:11], v8 offset0:16 offset1:216
.LBB0_25:
	s_wait_alu 0xfffe
	s_or_b32 exec_lo, exec_lo, s2
	v_subrev_nc_u32_e32 v49, 40, v48
	v_cmp_gt_u32_e64 s2, 40, v48
	v_dual_mov_b32 v70, 0 :: v_dual_and_b32 v55, 0xff, v54
	s_wait_alu 0xf1ff
	s_delay_alu instid0(VALU_DEP_2) | instskip(NEXT) | instid1(VALU_DEP_2)
	v_cndmask_b32_e64 v49, v49, v48, s2
	v_mul_lo_u16 v55, 0xcd, v55
	s_delay_alu instid0(VALU_DEP_2) | instskip(NEXT) | instid1(VALU_DEP_2)
	v_mul_i32_i24_e32 v69, 6, v49
	v_lshrrev_b16 v55, 13, v55
	s_delay_alu instid0(VALU_DEP_2) | instskip(NEXT) | instid1(VALU_DEP_2)
	v_lshlrev_b64_e32 v[90:91], 3, v[69:70]
	v_mul_lo_u16 v102, v55, 40
	v_and_b32_e32 v55, 0xffff, v55
	s_delay_alu instid0(VALU_DEP_3) | instskip(SKIP_1) | instid1(VALU_DEP_4)
	v_add_co_u32 v98, s2, s8, v90
	s_wait_alu 0xf1ff
	v_add_co_ci_u32_e64 v99, s2, s9, v91, s2
	v_sub_nc_u16 v102, v54, v102
	v_mul_u32_u24_e32 v55, 0x8c0, v55
	v_cmp_lt_u32_e64 s2, 39, v48
	s_clause 0x1
	global_load_b128 v[90:93], v[98:99], off offset:304
	global_load_b128 v[94:97], v[98:99], off offset:320
	v_and_b32_e32 v126, 0xff, v102
	v_and_b32_e32 v69, 0xff, v66
	global_load_b128 v[98:101], v[98:99], off offset:336
	s_wait_alu 0xf1ff
	v_cndmask_b32_e64 v128, 0, 0x8c0, s2
	v_mul_u32_u24_e32 v103, 6, v126
	v_lshlrev_b32_e32 v126, 3, v126
	s_wait_loadcnt_dscnt 0x108
	s_delay_alu instid0(VALU_DEP_2) | instskip(NEXT) | instid1(VALU_DEP_2)
	v_dual_mul_f32 v129, v97, v29 :: v_dual_lshlrev_b32 v110, 3, v103
	v_add3_u32 v55, 0, v55, v126
	v_mul_f32_e32 v126, v91, v15
	v_mul_f32_e32 v91, v91, v14
	v_mul_lo_u16 v69, 0xcd, v69
	s_wait_loadcnt_dscnt 0x6
	v_dual_mul_f32 v131, v101, v37 :: v_dual_mul_f32 v130, v99, v23
	v_fma_f32 v14, v90, v14, -v126
	global_load_b128 v[106:109], v110, s[8:9] offset:320
	v_lshrrev_b16 v69, 13, v69
	v_fmac_f32_e32 v91, v90, v15
	s_delay_alu instid0(VALU_DEP_2) | instskip(SKIP_1) | instid1(VALU_DEP_2)
	v_mul_lo_u16 v102, v69, 40
	v_and_b32_e32 v69, 0xffff, v69
	v_sub_nc_u16 v102, v66, v102
	s_delay_alu instid0(VALU_DEP_2) | instskip(NEXT) | instid1(VALU_DEP_2)
	v_mul_u32_u24_e32 v69, 0x8c0, v69
	v_and_b32_e32 v127, 0xff, v102
	global_load_b128 v[102:105], v110, s[8:9] offset:304
	v_mul_f32_e32 v99, v99, v22
	v_fma_f32 v22, v98, v22, -v130
	v_lshlrev_b32_e32 v49, 3, v49
	v_mul_f32_e32 v101, v101, v36
	s_delay_alu instid0(VALU_DEP_2) | instskip(SKIP_2) | instid1(VALU_DEP_1)
	v_add3_u32 v49, 0, v128, v49
	v_mul_f32_e32 v128, v95, v19
	v_mul_u32_u24_e32 v111, 6, v127
	v_lshlrev_b32_e32 v122, 3, v111
	s_wait_loadcnt_dscnt 0x5
	v_mul_f32_e32 v90, v103, v45
	v_fmac_f32_e32 v101, v100, v37
	v_lshlrev_b32_e32 v127, 3, v127
	s_delay_alu instid0(VALU_DEP_1)
	v_add3_u32 v69, 0, v69, v127
	v_mul_f32_e32 v127, v93, v25
	v_mul_f32_e32 v93, v93, v24
	s_clause 0x3
	global_load_b128 v[110:113], v110, s[8:9] offset:336
	global_load_b128 v[114:117], v122, s[8:9] offset:304
	;; [unrolled: 1-line block ×4, first 2 shown]
	global_wb scope:SCOPE_SE
	s_wait_loadcnt_dscnt 0x0
	s_barrier_signal -1
	v_fma_f32 v15, v92, v24, -v127
	v_dual_fmac_f32 v93, v92, v25 :: v_dual_mul_f32 v92, v105, v27
	v_fmac_f32_e32 v99, v98, v23
	v_mul_f32_e32 v95, v95, v18
	v_fma_f32 v18, v94, v18, -v128
	v_fma_f32 v24, v100, v36, -v131
	s_barrier_wait -1
	global_inv scope:SCOPE_SE
	v_fmac_f32_e32 v95, v94, v19
	v_fma_f32 v19, v96, v28, -v129
	v_dual_mul_f32 v97, v97, v28 :: v_dual_add_f32 v28, v15, v22
	v_dual_sub_f32 v15, v15, v22 :: v_dual_mul_f32 v94, v41, v107
	s_delay_alu instid0(VALU_DEP_3) | instskip(NEXT) | instid1(VALU_DEP_3)
	v_add_f32_e32 v36, v18, v19
	v_dual_sub_f32 v18, v19, v18 :: v_dual_fmac_f32 v97, v96, v29
	v_mul_f32_e32 v96, v31, v109
	s_delay_alu instid0(VALU_DEP_2) | instskip(SKIP_1) | instid1(VALU_DEP_4)
	v_add_f32_e32 v130, v18, v15
	v_mul_f32_e32 v100, v39, v113
	v_add_f32_e32 v37, v95, v97
	v_add_f32_e32 v23, v14, v24
	v_sub_f32_e32 v14, v14, v24
	v_dual_mul_f32 v98, v33, v111 :: v_dual_add_f32 v25, v91, v101
	v_sub_f32_e32 v24, v91, v101
	s_delay_alu instid0(VALU_DEP_4)
	v_add_f32_e32 v126, v28, v23
	v_sub_f32_e32 v128, v28, v23
	v_sub_f32_e32 v28, v36, v28
	;; [unrolled: 1-line block ×4, first 2 shown]
	v_add_f32_e32 v29, v93, v99
	v_dual_mul_f32 v91, v103, v44 :: v_dual_sub_f32 v132, v18, v15
	v_sub_f32_e32 v18, v14, v18
	s_delay_alu instid0(VALU_DEP_4)
	v_add_f32_e32 v131, v19, v22
	v_mul_f32_e32 v93, v105, v26
	v_sub_f32_e32 v133, v19, v22
	v_mul_f32_e32 v99, v32, v111
	v_dual_mul_f32 v111, v43, v119 :: v_dual_sub_f32 v22, v22, v24
	v_mul_f32_e32 v97, v30, v109
	v_fma_f32 v26, v104, v26, -v92
	v_mul_f32_e32 v109, v16, v117
	v_add_f32_e32 v127, v29, v25
	v_sub_f32_e32 v129, v29, v25
	v_sub_f32_e32 v29, v37, v29
	v_mul_f32_e32 v95, v40, v107
	v_mul_f32_e32 v107, v17, v117
	v_fma_f32 v44, v102, v44, -v90
	v_mul_f32_e32 v101, v38, v113
	v_mul_f32_e32 v113, v42, v119
	v_fmac_f32_e32 v109, v17, v116
	v_fma_f32 v17, v42, v118, -v111
	v_dual_mul_f32 v42, 0x3f5ff5aa, v22 :: v_dual_fmac_f32 v97, v31, v108
	v_fma_f32 v31, v32, v110, -v98
	v_fma_f32 v32, v38, v112, -v100
	v_mul_f32_e32 v103, v47, v115
	v_sub_f32_e32 v15, v15, v14
	v_fmac_f32_e32 v113, v43, v118
	v_add_f32_e32 v14, v130, v14
	v_fmac_f32_e32 v91, v102, v45
	v_add_f32_e32 v43, v44, v32
	v_sub_f32_e32 v32, v44, v32
	v_fmac_f32_e32 v101, v39, v112
	v_dual_mul_f32 v105, v46, v115 :: v_dual_mul_f32 v38, 0x3d64c772, v29
	v_fmac_f32_e32 v95, v41, v106
	v_mul_f32_e32 v117, v20, v121
	v_mul_f32_e32 v39, 0xbf08b237, v132
	v_add_f32_e32 v45, v91, v101
	v_dual_sub_f32 v19, v24, v19 :: v_dual_add_f32 v24, v131, v24
	v_fmac_f32_e32 v93, v104, v27
	v_fma_f32 v27, v40, v106, -v94
	v_dual_mul_f32 v40, 0xbf08b237, v133 :: v_dual_fmac_f32 v99, v33, v110
	v_fma_f32 v33, v46, v114, -v103
	v_add_f32_e32 v46, v26, v31
	v_fma_f32 v16, v16, v116, -v107
	v_mul_f32_e32 v119, v35, v123
	v_mul_f32_e32 v115, v21, v121
	v_fma_f32 v30, v30, v108, -v96
	v_fmamk_f32 v96, v18, 0x3eae86e6, v39
	v_fmac_f32_e32 v117, v21, v120
	v_fma_f32 v21, v34, v122, -v119
	v_mul_f32_e32 v121, v34, v123
	v_sub_f32_e32 v26, v26, v31
	v_fmac_f32_e32 v96, 0x3ee1c552, v14
	s_delay_alu instid0(VALU_DEP_4) | instskip(NEXT) | instid1(VALU_DEP_4)
	v_add_f32_e32 v92, v16, v21
	v_dual_sub_f32 v16, v16, v21 :: v_dual_fmac_f32 v121, v35, v122
	v_add_f32_e32 v35, v36, v126
	s_delay_alu instid0(VALU_DEP_1) | instskip(SKIP_1) | instid1(VALU_DEP_1)
	v_add_f32_e32 v12, v12, v35
	v_fma_f32 v20, v20, v120, -v115
	v_dual_mul_f32 v123, v76, v125 :: v_dual_add_f32 v94, v17, v20
	s_delay_alu instid0(VALU_DEP_1) | instskip(NEXT) | instid1(VALU_DEP_1)
	v_fma_f32 v34, v75, v124, -v123
	v_dual_sub_f32 v17, v20, v17 :: v_dual_add_f32 v90, v33, v34
	v_sub_f32_e32 v33, v33, v34
	s_delay_alu instid0(VALU_DEP_2) | instskip(SKIP_1) | instid1(VALU_DEP_4)
	v_add_f32_e32 v106, v17, v16
	v_sub_f32_e32 v108, v17, v16
	v_sub_f32_e32 v104, v92, v90
	;; [unrolled: 1-line block ×3, first 2 shown]
	v_fmac_f32_e32 v105, v47, v114
	v_dual_mul_f32 v41, 0x3f5ff5aa, v15 :: v_dual_sub_f32 v110, v33, v17
	v_dual_sub_f32 v23, v23, v36 :: v_dual_sub_f32 v20, v117, v113
	v_dual_sub_f32 v111, v16, v33 :: v_dual_fmamk_f32 v16, v35, 0xbf955555, v12
	v_add_f32_e32 v47, v93, v99
	s_delay_alu instid0(VALU_DEP_4)
	v_fma_f32 v41, 0xbeae86e6, v18, -v41
	v_add_f32_e32 v102, v92, v90
	v_sub_f32_e32 v92, v94, v92
	v_add_f32_e32 v36, v37, v127
	v_dual_add_f32 v18, v47, v45 :: v_dual_mul_f32 v23, 0x3f4a47b2, v23
	v_mul_f32_e32 v125, v75, v125
	v_add_f32_e32 v75, v27, v30
	v_sub_f32_e32 v27, v30, v27
	v_sub_f32_e32 v25, v25, v37
	v_mul_f32_e32 v37, 0x3d64c772, v28
	v_fma_f32 v42, 0xbeae86e6, v19, -v42
	v_sub_f32_e32 v90, v90, v94
	v_add_f32_e32 v94, v94, v102
	v_mul_f32_e32 v102, 0xbf08b237, v108
	v_add_f32_e32 v98, v27, v26
	v_sub_f32_e32 v100, v27, v26
	v_dual_sub_f32 v26, v26, v32 :: v_dual_mul_f32 v25, 0x3f4a47b2, v25
	v_sub_f32_e32 v30, v97, v95
	v_fmamk_f32 v28, v28, 0x3d64c772, v23
	v_dual_fmac_f32 v125, v76, v124 :: v_dual_add_f32 v76, v95, v97
	v_fma_f32 v37, 0x3f3bfb3b, v128, -v37
	v_dual_sub_f32 v27, v32, v27 :: v_dual_fmac_f32 v42, 0x3ee1c552, v24
	v_fmamk_f32 v97, v19, 0x3eae86e6, v40
	v_fma_f32 v40, 0x3f5ff5aa, v22, -v40
	v_add_f32_e32 v32, v98, v32
	v_mul_f32_e32 v98, 0x3f5ff5aa, v26
	v_dual_sub_f32 v22, v47, v45 :: v_dual_sub_f32 v31, v93, v99
	v_dual_mul_f32 v90, 0x3f4a47b2, v90 :: v_dual_add_f32 v13, v13, v36
	v_fmac_f32_e32 v40, 0x3ee1c552, v24
	v_dual_add_f32 v28, v28, v16 :: v_dual_add_f32 v33, v106, v33
	v_fmac_f32_e32 v97, 0x3ee1c552, v24
	v_sub_f32_e32 v101, v30, v31
	v_add_f32_e32 v37, v37, v16
	v_sub_f32_e32 v45, v45, v76
	v_sub_f32_e32 v47, v76, v47
	v_fmamk_f32 v17, v36, 0xbf955555, v13
	v_add_f32_e32 v36, v76, v18
	v_mul_f32_e32 v76, 0xbf08b237, v101
	v_fma_f32 v39, 0x3f5ff5aa, v15, -v39
	v_dual_mul_f32 v24, 0x3f4a47b2, v45 :: v_dual_add_f32 v15, v46, v43
	v_fma_f32 v23, 0xbf3bfb3b, v128, -v23
	v_sub_f32_e32 v19, v46, v43
	v_sub_f32_e32 v43, v43, v75
	;; [unrolled: 1-line block ×3, first 2 shown]
	v_add_f32_e32 v35, v75, v15
	v_mul_f32_e32 v75, 0xbf08b237, v100
	v_dual_add_f32 v93, v109, v121 :: v_dual_add_f32 v108, v23, v16
	v_add_f32_e32 v95, v113, v117
	v_dual_add_f32 v99, v30, v31 :: v_dual_sub_f32 v30, v44, v30
	v_add_f32_e32 v15, v74, v36
	v_sub_f32_e32 v31, v31, v44
	v_fmamk_f32 v112, v27, 0x3eae86e6, v75
	v_dual_fmamk_f32 v29, v29, 0x3d64c772, v25 :: v_dual_add_f32 v16, v71, v94
	v_mul_f32_e32 v100, 0x3d64c772, v92
	v_fmamk_f32 v113, v30, 0x3eae86e6, v76
	v_fma_f32 v75, 0x3f5ff5aa, v26, -v75
	v_sub_f32_e32 v26, v108, v42
	v_add_f32_e32 v44, v99, v44
	v_fmamk_f32 v36, v36, 0xbf955555, v15
	v_mul_f32_e32 v99, 0x3f5ff5aa, v31
	v_fma_f32 v31, 0x3f5ff5aa, v31, -v76
	v_fmac_f32_e32 v112, 0x3ee1c552, v32
	v_fma_f32 v76, 0xbeae86e6, v27, -v98
	v_fmamk_f32 v98, v110, 0x3eae86e6, v102
	v_dual_mul_f32 v18, 0x3f4a47b2, v43 :: v_dual_add_f32 v91, v105, v125
	v_mul_f32_e32 v106, 0x3f5ff5aa, v111
	v_sub_f32_e32 v34, v105, v125
	v_sub_f32_e32 v21, v109, v121
	v_fma_f32 v38, 0x3f3bfb3b, v129, -v38
	v_dual_add_f32 v103, v93, v91 :: v_dual_fmac_f32 v76, 0x3ee1c552, v32
	v_fmac_f32_e32 v39, 0x3ee1c552, v14
	v_fma_f32 v30, 0xbeae86e6, v30, -v99
	v_sub_f32_e32 v105, v93, v91
	v_sub_f32_e32 v91, v91, v95
	v_fmamk_f32 v71, v92, 0x3d64c772, v90
	v_fma_f32 v92, 0x3f3bfb3b, v104, -v100
	v_fmac_f32_e32 v75, 0x3ee1c552, v32
	v_fmamk_f32 v32, v94, 0xbf955555, v16
	v_dual_fmac_f32 v41, 0x3ee1c552, v14 :: v_dual_add_f32 v14, v73, v35
	v_fma_f32 v25, 0xbf3bfb3b, v129, -v25
	v_add_f32_e32 v38, v38, v17
	v_fma_f32 v73, 0xbf3bfb3b, v19, -v18
	v_fmac_f32_e32 v30, 0x3ee1c552, v44
	v_dual_mul_f32 v43, 0x3d64c772, v46 :: v_dual_fmamk_f32 v46, v46, 0x3d64c772, v18
	v_fmamk_f32 v35, v35, 0xbf955555, v14
	v_sub_f32_e32 v109, v20, v21
	v_sub_f32_e32 v93, v95, v93
	v_add_f32_e32 v23, v39, v38
	v_fmac_f32_e32 v113, 0x3ee1c552, v44
	v_add_f32_e32 v95, v95, v103
	v_mul_f32_e32 v103, 0xbf08b237, v109
	v_add_f32_e32 v109, v25, v17
	v_dual_sub_f32 v25, v38, v39 :: v_dual_add_f32 v38, v71, v32
	v_fma_f32 v100, 0x3f5ff5aa, v111, -v102
	v_mul_f32_e32 v91, 0x3f4a47b2, v91
	v_mul_f32_e32 v101, 0x3d64c772, v93
	v_fmac_f32_e32 v98, 0x3ee1c552, v33
	v_add_f32_e32 v29, v29, v17
	v_fmac_f32_e32 v100, 0x3ee1c552, v33
	v_add_f32_e32 v18, v97, v28
	v_fma_f32 v43, 0x3f3bfb3b, v19, -v43
	v_dual_add_f32 v107, v20, v21 :: v_dual_sub_f32 v20, v34, v20
	v_sub_f32_e32 v21, v21, v34
	v_dual_add_f32 v17, v72, v95 :: v_dual_fmamk_f32 v72, v93, 0x3d64c772, v91
	s_delay_alu instid0(VALU_DEP_3) | instskip(SKIP_1) | instid1(VALU_DEP_4)
	v_dual_add_f32 v34, v107, v34 :: v_dual_fmamk_f32 v99, v20, 0x3eae86e6, v103
	v_fma_f32 v93, 0x3f3bfb3b, v105, -v101
	v_fma_f32 v101, 0x3f5ff5aa, v21, -v103
	v_fmac_f32_e32 v31, 0x3ee1c552, v44
	v_mul_f32_e32 v45, 0x3d64c772, v47
	v_fmac_f32_e32 v99, 0x3ee1c552, v34
	v_mul_f32_e32 v107, 0x3f5ff5aa, v21
	v_sub_f32_e32 v19, v29, v96
	v_fma_f32 v74, 0xbf3bfb3b, v22, -v24
	v_fma_f32 v45, 0x3f3bfb3b, v22, -v45
	v_fma_f32 v90, 0xbf3bfb3b, v104, -v90
	v_fma_f32 v103, 0xbeae86e6, v20, -v107
	v_add_f32_e32 v20, v42, v108
	v_dual_sub_f32 v22, v37, v40 :: v_dual_fmamk_f32 v47, v47, 0x3d64c772, v24
	v_fmac_f32_e32 v101, 0x3ee1c552, v34
	s_delay_alu instid0(VALU_DEP_4)
	v_dual_fmac_f32 v103, 0x3ee1c552, v34 :: v_dual_add_f32 v34, v92, v32
	v_sub_f32_e32 v21, v109, v41
	v_add_f32_e32 v24, v40, v37
	v_add_f32_e32 v27, v41, v109
	v_sub_f32_e32 v28, v28, v97
	v_add_f32_e32 v29, v96, v29
	ds_store_2addr_b64 v49, v[12:13], v[18:19] offset1:40
	ds_store_2addr_b64 v49, v[20:21], v[22:23] offset0:80 offset1:120
	ds_store_2addr_b64 v49, v[24:25], v[26:27] offset0:160 offset1:200
	ds_store_b64 v49, v[28:29] offset:1920
	v_dual_add_f32 v26, v46, v35 :: v_dual_add_f32 v27, v47, v36
	v_add_f32_e32 v23, v45, v36
	v_dual_add_f32 v24, v73, v35 :: v_dual_add_f32 v25, v74, v36
	v_add_f32_e32 v36, v90, v32
	s_delay_alu instid0(VALU_DEP_4)
	v_add_f32_e32 v12, v113, v26
	v_dual_sub_f32 v26, v26, v113 :: v_dual_fmamk_f32 v37, v95, 0xbf955555, v17
	v_fma_f32 v102, 0xbeae86e6, v110, -v106
	v_add_f32_e32 v18, v30, v24
	v_sub_f32_e32 v24, v24, v30
	v_add_f32_e32 v30, v103, v36
	v_fma_f32 v91, 0xbf3bfb3b, v105, -v91
	v_dual_add_f32 v22, v43, v35 :: v_dual_add_f32 v39, v72, v37
	v_add_f32_e32 v35, v93, v37
	v_sub_f32_e32 v13, v27, v112
	s_delay_alu instid0(VALU_DEP_4)
	v_add_f32_e32 v37, v91, v37
	v_add_f32_e32 v28, v99, v38
	v_sub_f32_e32 v38, v38, v99
	v_dual_fmac_f32 v102, 0x3ee1c552, v33 :: v_dual_sub_f32 v19, v25, v76
	v_sub_f32_e32 v20, v22, v31
	v_add_f32_e32 v21, v75, v23
	v_add_f32_e32 v22, v31, v22
	v_sub_f32_e32 v23, v23, v75
	v_add_f32_e32 v25, v76, v25
	v_add_f32_e32 v27, v112, v27
	v_sub_f32_e32 v29, v39, v98
	v_dual_sub_f32 v31, v37, v102 :: v_dual_sub_f32 v32, v34, v101
	v_dual_add_f32 v33, v100, v35 :: v_dual_add_f32 v34, v101, v34
	v_dual_sub_f32 v35, v35, v100 :: v_dual_sub_f32 v36, v36, v103
	v_add_f32_e32 v37, v102, v37
	v_add_f32_e32 v39, v98, v39
	ds_store_2addr_b64 v55, v[14:15], v[12:13] offset1:40
	ds_store_2addr_b64 v55, v[18:19], v[20:21] offset0:80 offset1:120
	ds_store_2addr_b64 v55, v[22:23], v[24:25] offset0:160 offset1:200
	ds_store_b64 v55, v[26:27] offset:1920
	ds_store_2addr_b64 v69, v[16:17], v[28:29] offset1:40
	ds_store_2addr_b64 v69, v[30:31], v[32:33] offset0:80 offset1:120
	ds_store_2addr_b64 v69, v[34:35], v[36:37] offset0:160 offset1:200
	ds_store_b64 v69, v[38:39] offset:1920
	s_and_saveexec_b32 s2, s1
	s_cbranch_execz .LBB0_27
; %bb.26:
	v_and_b32_e32 v12, 0xff, v65
	s_delay_alu instid0(VALU_DEP_1) | instskip(NEXT) | instid1(VALU_DEP_1)
	v_mul_lo_u16 v12, 0xcd, v12
	v_lshrrev_b16 v12, 13, v12
	s_delay_alu instid0(VALU_DEP_1) | instskip(NEXT) | instid1(VALU_DEP_1)
	v_mul_lo_u16 v12, v12, 40
	v_sub_nc_u16 v12, v65, v12
	s_delay_alu instid0(VALU_DEP_1) | instskip(NEXT) | instid1(VALU_DEP_1)
	v_and_b32_e32 v24, 0xff, v12
	v_mul_u32_u24_e32 v12, 6, v24
	s_delay_alu instid0(VALU_DEP_1)
	v_lshlrev_b32_e32 v20, 3, v12
	s_clause 0x2
	global_load_b128 v[12:15], v20, s[8:9] offset:304
	global_load_b128 v[16:19], v20, s[8:9] offset:336
	;; [unrolled: 1-line block ×3, first 2 shown]
	s_wait_loadcnt 0x2
	v_mul_f32_e32 v31, v7, v15
	v_mul_f32_e32 v27, v5, v13
	v_lshl_add_u32 v24, v24, 3, 0
	s_wait_loadcnt 0x0
	v_dual_mul_f32 v29, v3, v23 :: v_dual_mul_f32 v30, v1, v21
	v_mul_f32_e32 v23, v2, v23
	s_delay_alu instid0(VALU_DEP_3) | instskip(SKIP_4) | instid1(VALU_DEP_4)
	v_dual_mul_f32 v28, v11, v19 :: v_dual_add_nc_u32 v25, 0x2000, v24
	v_dual_mul_f32 v19, v10, v19 :: v_dual_add_nc_u32 v26, 0x2800, v24
	v_dual_mul_f32 v32, v9, v17 :: v_dual_mul_f32 v15, v6, v15
	v_fma_f32 v2, v2, v22, -v29
	v_fma_f32 v6, v6, v14, -v31
	v_fmac_f32_e32 v19, v11, v18
	v_mul_f32_e32 v21, v0, v21
	v_fma_f32 v0, v0, v20, -v30
	v_fmac_f32_e32 v23, v3, v22
	v_fma_f32 v10, v10, v18, -v28
	v_fmac_f32_e32 v15, v7, v14
	s_delay_alu instid0(VALU_DEP_4) | instskip(SKIP_4) | instid1(VALU_DEP_3)
	v_dual_sub_f32 v3, v2, v0 :: v_dual_add_f32 v0, v0, v2
	v_mul_f32_e32 v17, v8, v17
	v_fma_f32 v8, v8, v16, -v32
	v_mul_f32_e32 v13, v4, v13
	v_fma_f32 v4, v4, v12, -v27
	v_add_f32_e32 v2, v6, v8
	s_delay_alu instid0(VALU_DEP_3) | instskip(NEXT) | instid1(VALU_DEP_2)
	v_fmac_f32_e32 v13, v5, v12
	v_dual_sub_f32 v5, v6, v8 :: v_dual_sub_f32 v18, v0, v2
	s_delay_alu instid0(VALU_DEP_2) | instskip(SKIP_3) | instid1(VALU_DEP_2)
	v_sub_f32_e32 v6, v13, v19
	v_fmac_f32_e32 v21, v1, v20
	v_sub_f32_e32 v1, v4, v10
	v_add_f32_e32 v4, v4, v10
	v_sub_f32_e32 v12, v1, v3
	v_fmac_f32_e32 v17, v9, v16
	s_delay_alu instid0(VALU_DEP_1) | instskip(SKIP_3) | instid1(VALU_DEP_3)
	v_sub_f32_e32 v10, v15, v17
	v_sub_f32_e32 v8, v23, v21
	v_add_f32_e32 v11, v15, v17
	v_sub_f32_e32 v17, v4, v0
	v_dual_sub_f32 v20, v6, v8 :: v_dual_add_f32 v7, v13, v19
	v_add_f32_e32 v19, v2, v4
	v_dual_sub_f32 v2, v2, v4 :: v_dual_add_f32 v9, v21, v23
	v_sub_f32_e32 v21, v8, v10
	v_add_f32_e32 v8, v8, v10
	v_sub_f32_e32 v4, v10, v6
	v_add_f32_e32 v16, v11, v7
	v_sub_f32_e32 v13, v3, v5
	s_delay_alu instid0(VALU_DEP_4) | instskip(SKIP_1) | instid1(VALU_DEP_2)
	v_dual_add_f32 v3, v3, v5 :: v_dual_add_f32 v6, v8, v6
	v_sub_f32_e32 v14, v7, v9
	v_add_f32_e32 v3, v3, v1
	v_sub_f32_e32 v5, v5, v1
	s_delay_alu instid0(VALU_DEP_1) | instskip(SKIP_2) | instid1(VALU_DEP_2)
	v_dual_mul_f32 v8, 0x3f5ff5aa, v5 :: v_dual_sub_f32 v15, v9, v11
	v_dual_add_f32 v9, v9, v16 :: v_dual_mul_f32 v16, 0x3d64c772, v18
	v_mul_f32_e32 v10, 0xbf08b237, v13
	v_add_f32_e32 v1, v68, v9
	v_sub_f32_e32 v7, v11, v7
	v_dual_mul_f32 v11, 0x3f4a47b2, v14 :: v_dual_mul_f32 v14, 0x3f4a47b2, v17
	s_delay_alu instid0(VALU_DEP_4) | instskip(SKIP_2) | instid1(VALU_DEP_4)
	v_fmamk_f32 v22, v12, 0x3eae86e6, v10
	v_add_f32_e32 v17, v0, v19
	v_fma_f32 v12, 0xbeae86e6, v12, -v8
	v_fmamk_f32 v18, v18, 0x3d64c772, v14
	v_mul_f32_e32 v19, 0xbf08b237, v21
	s_delay_alu instid0(VALU_DEP_4) | instskip(NEXT) | instid1(VALU_DEP_2)
	v_dual_mul_f32 v21, 0x3f5ff5aa, v4 :: v_dual_add_f32 v0, v67, v17
	v_fmamk_f32 v23, v20, 0x3eae86e6, v19
	v_fma_f32 v19, 0x3f5ff5aa, v4, -v19
	v_fmamk_f32 v4, v9, 0xbf955555, v1
	v_mul_f32_e32 v13, 0x3d64c772, v15
	v_fmamk_f32 v15, v15, 0x3d64c772, v11
	v_fma_f32 v8, 0xbf3bfb3b, v7, -v11
	v_fma_f32 v11, 0xbf3bfb3b, v2, -v14
	;; [unrolled: 1-line block ×4, first 2 shown]
	s_delay_alu instid0(VALU_DEP_2)
	v_fmac_f32_e32 v14, 0x3ee1c552, v6
	v_fmac_f32_e32 v22, 0x3ee1c552, v3
	v_fma_f32 v10, 0x3f5ff5aa, v5, -v10
	v_fmac_f32_e32 v23, 0x3ee1c552, v6
	v_fmamk_f32 v5, v17, 0xbf955555, v0
	v_dual_fmac_f32 v19, 0x3ee1c552, v6 :: v_dual_add_f32 v6, v15, v4
	v_fma_f32 v7, 0x3f3bfb3b, v7, -v13
	v_fmac_f32_e32 v12, 0x3ee1c552, v3
	v_dual_fmac_f32 v10, 0x3ee1c552, v3 :: v_dual_add_f32 v13, v8, v4
	v_add_f32_e32 v16, v11, v5
	s_delay_alu instid0(VALU_DEP_4)
	v_add_f32_e32 v8, v7, v4
	v_add_f32_e32 v2, v2, v5
	;; [unrolled: 1-line block ×5, first 2 shown]
	v_sub_f32_e32 v7, v8, v10
	v_add_f32_e32 v9, v10, v8
	v_sub_f32_e32 v11, v13, v12
	v_sub_f32_e32 v13, v6, v22
	v_add_f32_e32 v6, v19, v2
	v_add_f32_e32 v10, v14, v16
	v_add_f32_e32 v12, v23, v15
	v_sub_f32_e32 v8, v2, v19
	v_sub_f32_e32 v4, v16, v14
	;; [unrolled: 1-line block ×3, first 2 shown]
	ds_store_2addr_b64 v25, v[0:1], v[12:13] offset0:96 offset1:136
	ds_store_2addr_b64 v25, v[10:11], v[8:9] offset0:176 offset1:216
	ds_store_2addr_b64 v26, v[6:7], v[4:5] offset1:40
	ds_store_b64 v24, v[2:3] offset:10880
.LBB0_27:
	s_wait_alu 0xfffe
	s_or_b32 exec_lo, exec_lo, s2
	v_lshlrev_b32_e32 v69, 2, v48
	global_wb scope:SCOPE_SE
	s_wait_dscnt 0x0
	s_barrier_signal -1
	s_barrier_wait -1
	global_inv scope:SCOPE_SE
	v_lshlrev_b64_e32 v[0:1], 3, v[69:70]
	s_mov_b32 s2, exec_lo
	s_delay_alu instid0(VALU_DEP_1) | instskip(SKIP_1) | instid1(VALU_DEP_2)
	v_add_co_u32 v0, s1, s8, v0
	s_wait_alu 0xf1ff
	v_add_co_ci_u32_e64 v1, s1, s9, v1, s1
	s_clause 0x1
	global_load_b128 v[10:13], v[0:1], off offset:2224
	global_load_b128 v[14:17], v[0:1], off offset:2240
	v_lshlrev_b32_e32 v69, 2, v54
	s_delay_alu instid0(VALU_DEP_1) | instskip(SKIP_1) | instid1(VALU_DEP_2)
	v_lshlrev_b64_e32 v[2:3], 3, v[69:70]
	v_lshlrev_b32_e32 v69, 2, v66
	v_add_co_u32 v0, s1, s8, v2
	s_wait_alu 0xf1ff
	s_delay_alu instid0(VALU_DEP_3) | instskip(NEXT) | instid1(VALU_DEP_3)
	v_add_co_ci_u32_e64 v1, s1, s9, v3, s1
	v_lshlrev_b64_e32 v[2:3], 3, v[69:70]
	s_clause 0x1
	global_load_b128 v[18:21], v[0:1], off offset:2224
	global_load_b128 v[22:25], v[0:1], off offset:2240
	v_lshlrev_b32_e32 v69, 2, v65
	v_add_co_u32 v0, s1, s8, v2
	s_wait_alu 0xf1ff
	v_add_co_ci_u32_e64 v1, s1, s9, v3, s1
	s_clause 0x1
	global_load_b128 v[26:29], v[0:1], off offset:2224
	global_load_b128 v[30:33], v[0:1], off offset:2240
	v_lshlrev_b64_e32 v[0:1], 3, v[69:70]
	v_lshlrev_b32_e32 v69, 2, v64
	v_add_nc_u32_e32 v49, 0x1800, v78
	v_add_nc_u32_e32 v55, 0x2000, v78
	s_delay_alu instid0(VALU_DEP_4)
	v_add_co_u32 v0, s1, s8, v0
	s_wait_alu 0xf1ff
	v_add_co_ci_u32_e64 v1, s1, s9, v1, s1
	s_clause 0x1
	global_load_b128 v[34:37], v[0:1], off offset:2224
	global_load_b128 v[38:41], v[0:1], off offset:2240
	v_lshlrev_b64_e32 v[0:1], 3, v[69:70]
	s_delay_alu instid0(VALU_DEP_1) | instskip(SKIP_1) | instid1(VALU_DEP_2)
	v_add_co_u32 v0, s1, s8, v0
	s_wait_alu 0xf1ff
	v_add_co_ci_u32_e64 v1, s1, s9, v1, s1
	s_clause 0x1
	global_load_b128 v[42:45], v[0:1], off offset:2224
	global_load_b128 v[67:70], v[0:1], off offset:2240
	ds_load_b64 v[46:47], v80
	ds_load_b64 v[75:76], v86
	ds_load_2addr_b64 v[71:74], v49 offset0:72 offset1:128
	ds_load_2addr_b64 v[90:93], v55 offset0:40 offset1:96
	ds_load_b64 v[8:9], v78
	ds_load_b64 v[6:7], v84
	;; [unrolled: 1-line block ×4, first 2 shown]
	v_add_nc_u32_e32 v110, 0x800, v78
	v_add_nc_u32_e32 v98, 0x1000, v78
	;; [unrolled: 1-line block ×4, first 2 shown]
	s_wait_loadcnt_dscnt 0x805
	v_mul_f32_e32 v122, v15, v72
	v_mul_f32_e32 v15, v15, v71
	ds_load_b64 v[0:1], v81
	ds_load_2addr_b64 v[94:97], v110 offset0:80 offset1:136
	ds_load_2addr_b64 v[98:101], v98 offset0:104 offset1:160
	;; [unrolled: 1-line block ×7, first 2 shown]
	v_mul_f32_e32 v49, v11, v47
	v_mul_f32_e32 v55, v13, v76
	s_wait_dscnt 0xc
	v_mul_f32_e32 v123, v93, v17
	v_dual_mul_f32 v124, v92, v17 :: v_dual_mul_f32 v13, v13, v75
	v_fma_f32 v17, v10, v46, -v49
	v_mul_f32_e32 v11, v11, v46
	s_delay_alu instid0(VALU_DEP_4) | instskip(NEXT) | instid1(VALU_DEP_4)
	v_fma_f32 v46, v92, v16, -v123
	v_fmac_f32_e32 v124, v93, v16
	v_fmac_f32_e32 v13, v12, v76
	global_wb scope:SCOPE_SE
	s_wait_loadcnt_dscnt 0x0
	v_fmac_f32_e32 v11, v10, v47
	v_fma_f32 v10, v12, v75, -v55
	v_fma_f32 v12, v14, v71, -v122
	v_add_f32_e32 v76, v17, v46
	s_barrier_signal -1
	v_mul_f32_e32 v16, v94, v19
	v_mul_f32_e32 v47, v74, v23
	v_dual_mul_f32 v23, v73, v23 :: v_dual_sub_f32 v92, v10, v17
	v_sub_f32_e32 v93, v12, v46
	s_delay_alu instid0(VALU_DEP_4) | instskip(SKIP_1) | instid1(VALU_DEP_3)
	v_fmac_f32_e32 v16, v95, v18
	s_barrier_wait -1
	v_fmac_f32_e32 v23, v74, v22
	v_dual_sub_f32 v74, v17, v10 :: v_dual_fmac_f32 v15, v14, v72
	v_mul_f32_e32 v14, v95, v19
	v_mul_f32_e32 v19, v99, v21
	v_dual_mul_f32 v21, v98, v21 :: v_dual_sub_f32 v72, v11, v124
	v_dual_mul_f32 v55, v102, v25 :: v_dual_sub_f32 v122, v13, v11
	s_delay_alu instid0(VALU_DEP_4) | instskip(NEXT) | instid1(VALU_DEP_4)
	v_fma_f32 v14, v94, v18, -v14
	v_fma_f32 v18, v98, v20, -v19
	s_delay_alu instid0(VALU_DEP_4)
	v_fmac_f32_e32 v21, v99, v20
	v_fma_f32 v20, v73, v22, -v47
	v_mul_f32_e32 v19, v97, v27
	v_mul_f32_e32 v22, v96, v27
	v_dual_add_f32 v94, v9, v11 :: v_dual_mul_f32 v49, v103, v25
	v_fmac_f32_e32 v55, v103, v24
	v_mul_f32_e32 v25, v100, v29
	v_mul_f32_e32 v27, v107, v31
	v_add_f32_e32 v71, v10, v12
	v_fma_f32 v47, v102, v24, -v49
	v_dual_mul_f32 v24, v101, v29 :: v_dual_mul_f32 v29, v106, v31
	v_mul_f32_e32 v31, v105, v33
	v_mul_f32_e32 v49, v104, v33
	v_add_f32_e32 v33, v8, v17
	v_fma_f32 v19, v96, v26, -v19
	v_fmac_f32_e32 v22, v97, v26
	v_mul_f32_e32 v26, v111, v35
	v_sub_f32_e32 v73, v13, v15
	v_add_f32_e32 v95, v13, v15
	v_dual_sub_f32 v98, v17, v46 :: v_dual_sub_f32 v99, v10, v12
	v_sub_f32_e32 v102, v124, v15
	v_fma_f32 v24, v100, v28, -v24
	v_add_f32_e32 v33, v33, v10
	v_fma_f32 v10, -0.5, v71, v8
	v_sub_f32_e32 v17, v11, v13
	v_fmac_f32_e32 v29, v107, v30
	v_fma_f32 v8, -0.5, v76, v8
	v_add_f32_e32 v76, v18, v20
	v_dual_sub_f32 v100, v18, v14 :: v_dual_fmac_f32 v25, v101, v28
	v_fma_f32 v28, v106, v30, -v27
	v_mul_f32_e32 v30, v115, v37
	v_add_f32_e32 v13, v94, v13
	v_sub_f32_e32 v94, v14, v18
	v_sub_f32_e32 v75, v46, v12
	;; [unrolled: 1-line block ×3, first 2 shown]
	v_mul_f32_e32 v27, v110, v35
	v_mul_f32_e32 v35, v114, v37
	;; [unrolled: 1-line block ×3, first 2 shown]
	v_fma_f32 v26, v110, v34, -v26
	v_mul_f32_e32 v110, v116, v45
	v_add_f32_e32 v71, v92, v93
	v_sub_f32_e32 v92, v16, v55
	v_fma_f32 v96, v104, v32, -v31
	v_mul_f32_e32 v31, v109, v39
	v_sub_f32_e32 v123, v15, v124
	v_fmac_f32_e32 v27, v111, v34
	v_fma_f32 v34, v114, v36, -v30
	v_fmac_f32_e32 v35, v115, v36
	v_fma_f32 v36, v108, v38, -v31
	v_fmac_f32_e32 v37, v109, v38
	v_mul_f32_e32 v38, v121, v70
	v_mul_f32_e32 v70, v120, v70
	v_sub_f32_e32 v114, v28, v96
	v_dual_add_f32 v33, v33, v12 :: v_dual_fmamk_f32 v12, v72, 0x3f737871, v10
	v_dual_fmac_f32 v10, 0xbf737871, v72 :: v_dual_add_f32 v39, v74, v75
	v_add_f32_e32 v74, v17, v102
	v_dual_add_f32 v17, v6, v14 :: v_dual_fmac_f32 v70, v121, v69
	v_add_f32_e32 v103, v11, v124
	v_dual_sub_f32 v93, v21, v23 :: v_dual_fmac_f32 v12, 0x3f167918, v73
	v_dual_add_f32 v97, v14, v47 :: v_dual_fmac_f32 v10, 0xbf167918, v73
	v_add_f32_e32 v102, v7, v16
	v_sub_f32_e32 v104, v14, v47
	v_dual_sub_f32 v106, v16, v21 :: v_dual_sub_f32 v107, v55, v23
	v_fmac_f32_e32 v49, v105, v32
	v_mul_f32_e32 v30, v113, v43
	v_dual_mul_f32 v109, v112, v43 :: v_dual_fmamk_f32 v14, v73, 0xbf737871, v8
	v_dual_fmac_f32 v8, 0x3f737871, v73 :: v_dual_add_f32 v75, v122, v123
	v_dual_add_f32 v122, v16, v55 :: v_dual_sub_f32 v123, v21, v16
	v_add_f32_e32 v43, v17, v18
	v_fma_f32 v16, -0.5, v76, v6
	v_mul_f32_e32 v32, v119, v41
	v_fma_f32 v11, -0.5, v95, v9
	v_sub_f32_e32 v95, v47, v20
	v_dual_sub_f32 v101, v20, v47 :: v_dual_fmac_f32 v14, 0x3f167918, v72
	v_sub_f32_e32 v105, v18, v20
	v_fma_f32 v112, v112, v42, -v30
	v_fmac_f32_e32 v8, 0xbf167918, v72
	v_add_f32_e32 v30, v43, v20
	v_fmamk_f32 v20, v92, 0x3f737871, v16
	v_fmac_f32_e32 v16, 0xbf737871, v92
	v_add_f32_e32 v76, v106, v107
	v_dual_fmac_f32 v9, -0.5, v103 :: v_dual_add_f32 v126, v22, v49
	v_add_f32_e32 v103, v21, v23
	v_fma_f32 v108, v118, v40, -v32
	v_mul_f32_e32 v32, v91, v68
	v_mul_f32_e32 v111, v90, v68
	v_fma_f32 v6, -0.5, v97, v6
	v_add_f32_e32 v68, v100, v101
	v_sub_f32_e32 v128, v29, v49
	v_fmac_f32_e32 v110, v117, v44
	v_dual_add_f32 v97, v24, v28 :: v_dual_fmac_f32 v14, 0x3e9e377a, v71
	v_dual_sub_f32 v101, v25, v29 :: v_dual_fmac_f32 v8, 0x3e9e377a, v71
	v_sub_f32_e32 v127, v25, v22
	v_mul_f32_e32 v31, v117, v45
	v_dual_add_f32 v18, v33, v46 :: v_dual_add_f32 v45, v94, v95
	v_dual_fmac_f32 v20, 0x3f167918, v93 :: v_dual_add_f32 v95, v4, v19
	v_fmac_f32_e32 v16, 0xbf167918, v93
	v_dual_mul_f32 v41, v118, v41 :: v_dual_add_f32 v106, v19, v96
	v_fma_f32 v17, -0.5, v103, v7
	v_add_f32_e32 v94, v123, v125
	v_dual_sub_f32 v100, v22, v49 :: v_dual_add_f32 v115, v5, v22
	v_add_f32_e32 v118, v25, v29
	v_dual_add_f32 v21, v102, v21 :: v_dual_fmac_f32 v12, 0x3e9e377a, v39
	v_dual_fmac_f32 v7, -0.5, v122 :: v_dual_fmac_f32 v10, 0x3e9e377a, v39
	v_sub_f32_e32 v102, v19, v24
	v_dual_sub_f32 v122, v24, v28 :: v_dual_sub_f32 v123, v22, v25
	v_sub_f32_e32 v125, v49, v29
	v_fma_f32 v90, v90, v67, -v32
	v_dual_fmamk_f32 v22, v93, 0xbf737871, v6 :: v_dual_sub_f32 v107, v24, v19
	v_add_f32_e32 v32, v95, v24
	v_fma_f32 v24, -0.5, v97, v4
	v_dual_fmac_f32 v41, v119, v40 :: v_dual_sub_f32 v72, v26, v34
	v_sub_f32_e32 v103, v96, v28
	v_sub_f32_e32 v119, v19, v96
	v_fmac_f32_e32 v109, v113, v42
	v_fma_f32 v4, -0.5, v106, v4
	v_add_f32_e32 v46, v127, v128
	v_fma_f32 v113, v116, v44, -v31
	v_add_f32_e32 v39, v32, v28
	v_fmamk_f32 v28, v100, 0x3f737871, v24
	v_fmac_f32_e32 v24, 0xbf737871, v100
	v_add_f32_e32 v44, v123, v125
	v_fmac_f32_e32 v111, v91, v67
	v_fma_f32 v91, v120, v69, -v38
	v_add_f32_e32 v38, v2, v26
	v_dual_add_f32 v40, v13, v15 :: v_dual_fmamk_f32 v13, v98, 0xbf737871, v11
	v_fmac_f32_e32 v11, 0x3f737871, v98
	v_dual_fmamk_f32 v15, v99, 0x3f737871, v9 :: v_dual_sub_f32 v106, v34, v36
	s_delay_alu instid0(VALU_DEP_4)
	v_dual_add_f32 v38, v38, v34 :: v_dual_fmac_f32 v9, 0xbf737871, v99
	v_dual_add_f32 v31, v21, v23 :: v_dual_fmac_f32 v20, 0x3e9e377a, v45
	v_add_f32_e32 v42, v102, v103
	v_dual_add_f32 v95, v26, v108 :: v_dual_fmac_f32 v24, 0xbf167918, v101
	v_dual_fmac_f32 v22, 0x3f167918, v92 :: v_dual_add_f32 v43, v107, v114
	v_fmac_f32_e32 v16, 0x3e9e377a, v45
	v_dual_sub_f32 v114, v41, v37 :: v_dual_add_f32 v45, v38, v36
	v_sub_f32_e32 v107, v27, v35
	v_add_f32_e32 v19, v40, v124
	v_add_f32_e32 v40, v34, v36
	v_dual_fmac_f32 v6, 0x3f737871, v93 :: v_dual_sub_f32 v97, v34, v26
	v_dual_sub_f32 v103, v26, v108 :: v_dual_fmac_f32 v24, 0x3e9e377a, v42
	v_add_f32_e32 v26, v30, v47
	v_dual_fmamk_f32 v30, v101, 0xbf737871, v4 :: v_dual_sub_f32 v67, v27, v41
	v_fmac_f32_e32 v4, 0x3f737871, v101
	v_sub_f32_e32 v69, v35, v37
	v_fma_f32 v32, -0.5, v40, v2
	v_fma_f32 v2, -0.5, v95, v2
	v_fmac_f32_e32 v11, 0x3f167918, v99
	v_fmac_f32_e32 v15, 0xbf167918, v98
	;; [unrolled: 1-line block ×3, first 2 shown]
	v_dual_sub_f32 v73, v108, v36 :: v_dual_fmac_f32 v28, 0x3f167918, v101
	v_dual_sub_f32 v98, v36, v108 :: v_dual_fmac_f32 v13, 0xbf167918, v99
	v_add_f32_e32 v99, v3, v27
	v_add_f32_e32 v102, v35, v37
	s_delay_alu instid0(VALU_DEP_4)
	v_fmac_f32_e32 v28, 0x3e9e377a, v42
	v_dual_fmac_f32 v6, 0xbf167918, v92 :: v_dual_add_f32 v33, v115, v25
	v_fmac_f32_e32 v22, 0x3e9e377a, v68
	v_fmac_f32_e32 v30, 0x3f167918, v100
	v_fmamk_f32 v21, v104, 0xbf737871, v17
	v_dual_fmac_f32 v17, 0x3f737871, v104 :: v_dual_fmamk_f32 v36, v67, 0x3f737871, v32
	v_fmac_f32_e32 v4, 0xbf167918, v100
	v_fmamk_f32 v23, v105, 0x3f737871, v7
	v_dual_fmac_f32 v7, 0xbf737871, v105 :: v_dual_fmamk_f32 v38, v69, 0xbf737871, v2
	v_fmac_f32_e32 v32, 0xbf737871, v67
	v_fmac_f32_e32 v2, 0x3f737871, v69
	v_dual_add_f32 v115, v27, v41 :: v_dual_fmac_f32 v4, 0x3e9e377a, v43
	v_sub_f32_e32 v116, v35, v27
	v_dual_add_f32 v27, v31, v55 :: v_dual_fmac_f32 v36, 0x3f167918, v69
	s_delay_alu instid0(VALU_DEP_4)
	v_dual_fmac_f32 v21, 0xbf167918, v105 :: v_dual_fmac_f32 v2, 0xbf167918, v67
	v_dual_fmac_f32 v23, 0xbf167918, v104 :: v_dual_fmac_f32 v32, 0xbf167918, v69
	v_add_f32_e32 v40, v99, v35
	v_sub_f32_e32 v92, v109, v70
	v_add_f32_e32 v47, v33, v29
	v_fma_f32 v33, -0.5, v102, v3
	v_dual_fmac_f32 v30, 0x3e9e377a, v43 :: v_dual_sub_f32 v69, v113, v90
	v_sub_f32_e32 v93, v110, v111
	v_add_f32_e32 v71, v97, v98
	v_fma_f32 v25, -0.5, v118, v5
	v_dual_fmac_f32 v5, -0.5, v126 :: v_dual_fmac_f32 v6, 0x3e9e377a, v68
	v_dual_sub_f32 v117, v37, v41 :: v_dual_fmac_f32 v38, 0x3f167918, v67
	s_delay_alu instid0(VALU_DEP_4) | instskip(SKIP_2) | instid1(VALU_DEP_3)
	v_dual_add_f32 v55, v72, v73 :: v_dual_fmac_f32 v2, 0x3e9e377a, v71
	v_fmac_f32_e32 v13, 0x3e9e377a, v74
	v_dual_fmac_f32 v11, 0x3e9e377a, v74 :: v_dual_add_f32 v74, v0, v112
	v_dual_fmac_f32 v32, 0x3e9e377a, v55 :: v_dual_add_f32 v35, v47, v49
	v_add_f32_e32 v47, v40, v37
	v_fmamk_f32 v37, v103, 0xbf737871, v33
	v_fmac_f32_e32 v33, 0x3f737871, v103
	v_dual_fmamk_f32 v31, v122, 0x3f737871, v5 :: v_dual_add_f32 v68, v109, v70
	v_fmac_f32_e32 v5, 0xbf737871, v122
	v_dual_add_f32 v49, v74, v113 :: v_dual_add_f32 v42, v45, v108
	v_add_f32_e32 v72, v107, v114
	v_fmac_f32_e32 v37, 0xbf167918, v106
	v_fmac_f32_e32 v33, 0x3f167918, v106
	;; [unrolled: 1-line block ×3, first 2 shown]
	v_add_f32_e32 v43, v47, v41
	v_add_f32_e32 v41, v49, v90
	v_fmac_f32_e32 v37, 0x3e9e377a, v72
	v_dual_fmac_f32 v33, 0x3e9e377a, v72 :: v_dual_sub_f32 v72, v110, v109
	v_fmac_f32_e32 v5, 0x3f167918, v119
	v_fmac_f32_e32 v17, 0x3f167918, v105
	;; [unrolled: 1-line block ×3, first 2 shown]
	v_sub_f32_e32 v95, v112, v113
	v_sub_f32_e32 v97, v91, v90
	v_dual_fmac_f32 v5, 0x3e9e377a, v46 :: v_dual_add_f32 v46, v41, v91
	v_add_f32_e32 v41, v110, v111
	v_dual_add_f32 v49, v1, v109 :: v_dual_add_f32 v98, v112, v91
	v_fmac_f32_e32 v36, 0x3e9e377a, v55
	v_fmac_f32_e32 v38, 0x3e9e377a, v71
	s_delay_alu instid0(VALU_DEP_4)
	v_fma_f32 v41, -0.5, v41, v1
	v_fmac_f32_e32 v1, -0.5, v68
	v_add_f32_e32 v34, v39, v96
	v_add_f32_e32 v45, v95, v97
	v_fmac_f32_e32 v15, 0x3e9e377a, v75
	v_fmac_f32_e32 v9, 0x3e9e377a, v75
	v_dual_sub_f32 v55, v112, v91 :: v_dual_fmamk_f32 v68, v69, 0x3f737871, v1
	v_add_f32_e32 v75, v113, v90
	v_sub_f32_e32 v47, v90, v91
	v_add_f32_e32 v49, v49, v110
	v_sub_f32_e32 v71, v70, v111
	v_fmac_f32_e32 v68, 0xbf167918, v55
	v_fma_f32 v40, -0.5, v75, v0
	v_fmamk_f32 v29, v119, 0xbf737871, v25
	v_fma_f32 v0, -0.5, v98, v0
	v_fmac_f32_e32 v25, 0x3f737871, v119
	v_fmac_f32_e32 v1, 0xbf737871, v69
	;; [unrolled: 1-line block ×4, first 2 shown]
	v_fmamk_f32 v67, v93, 0xbf737871, v0
	v_fmac_f32_e32 v0, 0x3f737871, v93
	v_fmac_f32_e32 v25, 0x3f167918, v122
	v_fmac_f32_e32 v3, -0.5, v115
	v_fmac_f32_e32 v29, 0x3e9e377a, v44
	v_fmac_f32_e32 v67, 0x3f167918, v92
	;; [unrolled: 1-line block ×4, first 2 shown]
	v_fmamk_f32 v44, v92, 0x3f737871, v40
	v_fmac_f32_e32 v40, 0xbf737871, v92
	v_fmac_f32_e32 v7, 0x3f167918, v104
	v_fmamk_f32 v39, v106, 0x3f737871, v3
	v_fmac_f32_e32 v3, 0xbf737871, v106
	v_fmac_f32_e32 v44, 0x3f167918, v93
	;; [unrolled: 1-line block ×7, first 2 shown]
	v_dual_fmac_f32 v40, 0x3e9e377a, v45 :: v_dual_sub_f32 v45, v113, v112
	v_fmac_f32_e32 v17, 0x3e9e377a, v76
	v_fmac_f32_e32 v23, 0x3e9e377a, v94
	;; [unrolled: 1-line block ×3, first 2 shown]
	global_inv scope:SCOPE_SE
	v_add_f32_e32 v47, v45, v47
	v_add_f32_e32 v73, v116, v117
	v_fmamk_f32 v45, v55, 0xbf737871, v41
	v_fmac_f32_e32 v41, 0x3f737871, v55
	s_delay_alu instid0(VALU_DEP_3)
	v_dual_fmac_f32 v0, 0x3e9e377a, v47 :: v_dual_fmac_f32 v39, 0x3e9e377a, v73
	v_fmac_f32_e32 v3, 0x3e9e377a, v73
	v_fmac_f32_e32 v67, 0x3e9e377a, v47
	v_add_f32_e32 v47, v49, v111
	v_sub_f32_e32 v49, v109, v110
	v_sub_f32_e32 v73, v111, v70
	v_fmac_f32_e32 v45, 0xbf167918, v69
	v_fmac_f32_e32 v41, 0x3f167918, v69
	v_add_f32_e32 v47, v47, v70
	v_add_f32_e32 v49, v49, v71
	;; [unrolled: 1-line block ×3, first 2 shown]
	s_delay_alu instid0(VALU_DEP_2) | instskip(SKIP_1) | instid1(VALU_DEP_3)
	v_fmac_f32_e32 v45, 0x3e9e377a, v49
	v_fmac_f32_e32 v41, 0x3e9e377a, v49
	;; [unrolled: 1-line block ×4, first 2 shown]
	ds_store_b64 v78, v[18:19]
	ds_store_b64 v78, v[12:13] offset:2240
	ds_store_b64 v78, v[14:15] offset:4480
	ds_store_b64 v78, v[8:9] offset:6720
	ds_store_b64 v78, v[10:11] offset:8960
	ds_store_b64 v84, v[26:27]
	ds_store_b64 v84, v[20:21] offset:2240
	ds_store_b64 v84, v[22:23] offset:4480
	ds_store_b64 v84, v[6:7] offset:6720
	ds_store_b64 v84, v[16:17] offset:8960
	;; [unrolled: 5-line block ×5, first 2 shown]
	global_wb scope:SCOPE_SE
	s_wait_dscnt 0x0
	s_barrier_signal -1
	s_barrier_wait -1
	global_inv scope:SCOPE_SE
	ds_load_b64 v[2:3], v78
	v_lshlrev_b32_e32 v0, 3, v48
                                        ; implicit-def: $vgpr1
                                        ; implicit-def: $vgpr5
	s_delay_alu instid0(VALU_DEP_1)
	v_sub_nc_u32_e32 v4, 0, v0
	v_cmpx_ne_u32_e32 0, v48
	s_wait_alu 0xfffe
	s_xor_b32 s2, exec_lo, s2
	s_cbranch_execz .LBB0_29
; %bb.28:
	v_mov_b32_e32 v49, 0
	s_delay_alu instid0(VALU_DEP_1) | instskip(NEXT) | instid1(VALU_DEP_1)
	v_lshlrev_b64_e32 v[0:1], 3, v[48:49]
	v_add_co_u32 v0, s1, s8, v0
	s_wait_alu 0xf1ff
	s_delay_alu instid0(VALU_DEP_2)
	v_add_co_ci_u32_e64 v1, s1, s9, v1, s1
	global_load_b64 v[6:7], v[0:1], off offset:11184
	ds_load_b64 v[0:1], v4 offset:11200
	s_wait_dscnt 0x0
	v_dual_add_f32 v8, v1, v3 :: v_dual_sub_f32 v5, v2, v0
	v_dual_add_f32 v0, v0, v2 :: v_dual_sub_f32 v1, v3, v1
	s_delay_alu instid0(VALU_DEP_2) | instskip(NEXT) | instid1(VALU_DEP_2)
	v_dual_mul_f32 v2, 0.5, v8 :: v_dual_mul_f32 v3, 0.5, v5
	v_mul_f32_e32 v1, 0.5, v1
	s_wait_loadcnt 0x0
	s_delay_alu instid0(VALU_DEP_2) | instskip(NEXT) | instid1(VALU_DEP_2)
	v_mul_f32_e32 v5, v7, v3
	v_fma_f32 v8, v2, v7, v1
	v_fma_f32 v1, v2, v7, -v1
	s_delay_alu instid0(VALU_DEP_3) | instskip(SKIP_1) | instid1(VALU_DEP_4)
	v_fma_f32 v9, 0.5, v0, v5
	v_fma_f32 v0, v0, 0.5, -v5
	v_fma_f32 v5, -v6, v3, v8
	s_delay_alu instid0(VALU_DEP_4) | instskip(NEXT) | instid1(VALU_DEP_4)
	v_fma_f32 v1, -v6, v3, v1
	v_fmac_f32_e32 v9, v6, v2
	s_delay_alu instid0(VALU_DEP_4)
	v_fma_f32 v0, -v6, v2, v0
                                        ; implicit-def: $vgpr2_vgpr3
	ds_store_b32 v78, v9
.LBB0_29:
	s_wait_alu 0xfffe
	s_and_not1_saveexec_b32 s1, s2
	s_cbranch_execz .LBB0_31
; %bb.30:
	s_wait_dscnt 0x0
	v_dual_mov_b32 v5, 0 :: v_dual_add_f32 v6, v2, v3
	v_sub_f32_e32 v0, v2, v3
	ds_load_b32 v1, v5 offset:5604
	s_wait_dscnt 0x0
	v_xor_b32_e32 v2, 0x80000000, v1
	v_mov_b32_e32 v1, v5
	ds_store_b32 v78, v6
	ds_store_b32 v5, v2 offset:5604
.LBB0_31:
	s_wait_alu 0xfffe
	s_or_b32 exec_lo, exec_lo, s1
	v_mov_b32_e32 v55, 0
	s_wait_dscnt 0x0
	s_delay_alu instid0(VALU_DEP_1) | instskip(SKIP_1) | instid1(VALU_DEP_1)
	v_lshlrev_b64_e32 v[2:3], 3, v[54:55]
	v_mov_b32_e32 v67, v55
	v_lshlrev_b64_e32 v[6:7], 3, v[66:67]
	v_mov_b32_e32 v66, v55
	s_delay_alu instid0(VALU_DEP_4) | instskip(SKIP_2) | instid1(VALU_DEP_4)
	v_add_co_u32 v2, s1, s8, v2
	s_wait_alu 0xf1ff
	v_add_co_ci_u32_e64 v3, s1, s9, v3, s1
	v_add_co_u32 v6, s1, s8, v6
	s_wait_alu 0xf1ff
	v_add_co_ci_u32_e64 v7, s1, s9, v7, s1
	global_load_b64 v[2:3], v[2:3], off offset:11184
	v_lshlrev_b64_e32 v[8:9], 3, v[65:66]
	v_mov_b32_e32 v65, v55
	global_load_b64 v[6:7], v[6:7], off offset:11184
	v_add_co_u32 v8, s1, s8, v8
	s_wait_alu 0xf1ff
	v_add_co_ci_u32_e64 v9, s1, s9, v9, s1
	v_lshlrev_b64_e32 v[10:11], 3, v[64:65]
	v_mov_b32_e32 v64, v55
	global_load_b64 v[8:9], v[8:9], off offset:11184
	v_add_co_u32 v10, s1, s8, v10
	s_wait_alu 0xf1ff
	v_add_co_ci_u32_e64 v11, s1, s9, v11, s1
	;; [unrolled: 6-line block ×4, first 2 shown]
	v_lshlrev_b64_e32 v[16:17], 3, v[61:62]
	global_load_b64 v[14:15], v[14:15], off offset:11184
	ds_store_b32 v78, v5 offset:4
	ds_store_b64 v4, v[0:1] offset:11200
	v_add_co_u32 v0, s1, s8, v16
	s_wait_alu 0xf1ff
	v_add_co_ci_u32_e64 v1, s1, s9, v17, s1
	ds_load_b64 v[16:17], v84
	ds_load_b64 v[18:19], v4 offset:10752
	global_load_b64 v[0:1], v[0:1], off offset:11184
	s_wait_dscnt 0x0
	v_dual_add_f32 v20, v17, v19 :: v_dual_sub_f32 v5, v16, v18
	v_dual_sub_f32 v17, v17, v19 :: v_dual_add_f32 v18, v16, v18
	s_delay_alu instid0(VALU_DEP_2) | instskip(NEXT) | instid1(VALU_DEP_3)
	v_dual_mov_b32 v61, v55 :: v_dual_mul_f32 v20, 0.5, v20
	v_mul_f32_e32 v5, 0.5, v5
	s_delay_alu instid0(VALU_DEP_3) | instskip(SKIP_1) | instid1(VALU_DEP_2)
	v_mul_f32_e32 v17, 0.5, v17
	s_wait_loadcnt 0x6
	v_mul_f32_e32 v19, v3, v5
	s_delay_alu instid0(VALU_DEP_2) | instskip(SKIP_1) | instid1(VALU_DEP_3)
	v_fma_f32 v21, v20, v3, v17
	v_fma_f32 v3, v20, v3, -v17
	v_fma_f32 v16, 0.5, v18, v19
	v_fma_f32 v22, v18, 0.5, -v19
	v_lshlrev_b64_e32 v[18:19], 3, v[60:61]
	v_mov_b32_e32 v60, v55
	s_delay_alu instid0(VALU_DEP_4)
	v_fmac_f32_e32 v16, v2, v20
	v_fma_f32 v17, -v2, v5, v21
	v_fma_f32 v3, -v2, v5, v3
	v_add_co_u32 v18, s1, s8, v18
	v_fma_f32 v2, -v2, v20, v22
	s_wait_alu 0xf1ff
	v_add_co_ci_u32_e64 v19, s1, s9, v19, s1
	ds_store_b64 v84, v[16:17]
	ds_store_b64 v4, v[2:3] offset:10752
	ds_load_b64 v[2:3], v83
	ds_load_b64 v[16:17], v4 offset:10304
	global_load_b64 v[18:19], v[18:19], off offset:11184
	s_wait_dscnt 0x0
	v_dual_sub_f32 v5, v2, v16 :: v_dual_add_f32 v20, v3, v17
	s_delay_alu instid0(VALU_DEP_1) | instskip(NEXT) | instid1(VALU_DEP_2)
	v_dual_add_f32 v16, v2, v16 :: v_dual_mul_f32 v5, 0.5, v5
	v_dual_mul_f32 v20, 0.5, v20 :: v_dual_sub_f32 v3, v3, v17
	s_wait_loadcnt 0x6
	s_delay_alu instid0(VALU_DEP_2) | instskip(NEXT) | instid1(VALU_DEP_1)
	v_mul_f32_e32 v17, v7, v5
	v_fma_f32 v2, 0.5, v16, v17
	v_fma_f32 v22, v16, 0.5, -v17
	v_lshlrev_b64_e32 v[16:17], 3, v[59:60]
	s_delay_alu instid0(VALU_DEP_3) | instskip(SKIP_1) | instid1(VALU_DEP_3)
	v_dual_mov_b32 v59, v55 :: v_dual_fmac_f32 v2, v6, v20
	v_mul_f32_e32 v3, 0.5, v3
	v_add_co_u32 v16, s1, s8, v16
	s_wait_alu 0xf1ff
	s_delay_alu instid0(VALU_DEP_4) | instskip(NEXT) | instid1(VALU_DEP_3)
	v_add_co_ci_u32_e64 v17, s1, s9, v17, s1
	v_fma_f32 v21, v20, v7, v3
	v_fma_f32 v7, v20, v7, -v3
	s_delay_alu instid0(VALU_DEP_2) | instskip(NEXT) | instid1(VALU_DEP_2)
	v_fma_f32 v3, -v6, v5, v21
	v_fma_f32 v7, -v6, v5, v7
	;; [unrolled: 1-line block ×3, first 2 shown]
	ds_store_b64 v83, v[2:3]
	ds_store_b64 v4, v[6:7] offset:10304
	ds_load_b64 v[2:3], v82
	ds_load_b64 v[5:6], v4 offset:9856
	global_load_b64 v[16:17], v[16:17], off offset:11184
	s_wait_dscnt 0x0
	v_add_f32_e32 v20, v3, v6
	s_delay_alu instid0(VALU_DEP_1) | instskip(SKIP_1) | instid1(VALU_DEP_2)
	v_dual_sub_f32 v3, v3, v6 :: v_dual_mul_f32 v20, 0.5, v20
	v_sub_f32_e32 v7, v2, v5
	v_mul_f32_e32 v3, 0.5, v3
	v_add_f32_e32 v5, v2, v5
	s_delay_alu instid0(VALU_DEP_3) | instskip(SKIP_1) | instid1(VALU_DEP_1)
	v_mul_f32_e32 v7, 0.5, v7
	s_wait_loadcnt 0x6
	v_mul_f32_e32 v6, v9, v7
	s_delay_alu instid0(VALU_DEP_1)
	v_fma_f32 v2, 0.5, v5, v6
	v_fma_f32 v22, v5, 0.5, -v6
	v_lshlrev_b64_e32 v[5:6], 3, v[58:59]
	v_mov_b32_e32 v58, v55
	v_fma_f32 v21, v20, v9, v3
	v_fma_f32 v9, v20, v9, -v3
	v_fmac_f32_e32 v2, v8, v20
	v_add_co_u32 v5, s1, s8, v5
	s_delay_alu instid0(VALU_DEP_4) | instskip(NEXT) | instid1(VALU_DEP_4)
	v_fma_f32 v3, -v8, v7, v21
	v_fma_f32 v9, -v8, v7, v9
	;; [unrolled: 1-line block ×3, first 2 shown]
	ds_store_b64 v82, v[2:3]
	ds_store_b64 v4, v[8:9] offset:9856
	ds_load_b64 v[2:3], v81
	ds_load_b64 v[7:8], v4 offset:9408
	s_wait_alu 0xf1ff
	v_add_co_ci_u32_e64 v6, s1, s9, v6, s1
	global_load_b64 v[5:6], v[5:6], off offset:11184
	s_wait_dscnt 0x0
	v_dual_sub_f32 v9, v2, v7 :: v_dual_add_f32 v20, v3, v8
	v_sub_f32_e32 v3, v3, v8
	s_delay_alu instid0(VALU_DEP_2) | instskip(NEXT) | instid1(VALU_DEP_2)
	v_dual_mul_f32 v9, 0.5, v9 :: v_dual_mul_f32 v20, 0.5, v20
	v_mul_f32_e32 v8, 0.5, v3
	v_add_f32_e32 v21, v2, v7
	v_lshlrev_b64_e32 v[2:3], 3, v[57:58]
	s_wait_loadcnt 0x6
	v_mul_f32_e32 v22, v11, v9
	v_fma_f32 v23, v20, v11, v8
	v_fma_f32 v11, v20, v11, -v8
	s_delay_alu instid0(VALU_DEP_3)
	v_fma_f32 v7, 0.5, v21, v22
	v_fma_f32 v21, v21, 0.5, -v22
	v_add_co_u32 v2, s1, s8, v2
	s_wait_alu 0xf1ff
	v_add_co_ci_u32_e64 v3, s1, s9, v3, s1
	v_fma_f32 v8, -v10, v9, v23
	v_fmac_f32_e32 v7, v10, v20
	v_fma_f32 v11, -v10, v9, v11
	v_fma_f32 v10, -v10, v20, v21
	global_load_b64 v[2:3], v[2:3], off offset:11184
	ds_store_b64 v81, v[7:8]
	ds_store_b64 v4, v[10:11] offset:9408
	ds_load_b64 v[7:8], v80
	ds_load_b64 v[9:10], v4 offset:8960
	s_wait_dscnt 0x0
	v_dual_sub_f32 v11, v7, v9 :: v_dual_add_f32 v20, v8, v10
	v_dual_sub_f32 v8, v8, v10 :: v_dual_add_f32 v9, v7, v9
	s_delay_alu instid0(VALU_DEP_2) | instskip(NEXT) | instid1(VALU_DEP_2)
	v_dual_mul_f32 v10, 0.5, v11 :: v_dual_mul_f32 v11, 0.5, v20
	v_mul_f32_e32 v8, 0.5, v8
	s_wait_loadcnt 0x6
	s_delay_alu instid0(VALU_DEP_2) | instskip(NEXT) | instid1(VALU_DEP_2)
	v_mul_f32_e32 v20, v13, v10
	v_fma_f32 v21, v11, v13, v8
	v_fma_f32 v13, v11, v13, -v8
	s_delay_alu instid0(VALU_DEP_3) | instskip(SKIP_1) | instid1(VALU_DEP_4)
	v_fma_f32 v7, 0.5, v9, v20
	v_fma_f32 v9, v9, 0.5, -v20
	v_fma_f32 v8, -v12, v10, v21
	s_delay_alu instid0(VALU_DEP_4) | instskip(NEXT) | instid1(VALU_DEP_4)
	v_fma_f32 v10, -v12, v10, v13
	v_fmac_f32_e32 v7, v12, v11
	s_delay_alu instid0(VALU_DEP_4)
	v_fma_f32 v9, -v12, v11, v9
	ds_store_b64 v80, v[7:8]
	ds_store_b64 v4, v[9:10] offset:8960
	ds_load_b64 v[7:8], v79
	ds_load_b64 v[9:10], v4 offset:8512
	s_wait_dscnt 0x0
	v_dual_sub_f32 v11, v7, v9 :: v_dual_add_f32 v12, v8, v10
	v_dual_sub_f32 v8, v8, v10 :: v_dual_add_f32 v9, v7, v9
	s_delay_alu instid0(VALU_DEP_2) | instskip(NEXT) | instid1(VALU_DEP_2)
	v_dual_mul_f32 v10, 0.5, v11 :: v_dual_mul_f32 v11, 0.5, v12
	v_mul_f32_e32 v8, 0.5, v8
	s_wait_loadcnt 0x5
	s_delay_alu instid0(VALU_DEP_2) | instskip(NEXT) | instid1(VALU_DEP_2)
	v_mul_f32_e32 v12, v15, v10
	v_fma_f32 v13, v11, v15, v8
	v_fma_f32 v15, v11, v15, -v8
	s_delay_alu instid0(VALU_DEP_3) | instskip(SKIP_1) | instid1(VALU_DEP_4)
	v_fma_f32 v7, 0.5, v9, v12
	v_fma_f32 v9, v9, 0.5, -v12
	v_fma_f32 v8, -v14, v10, v13
	s_delay_alu instid0(VALU_DEP_4) | instskip(NEXT) | instid1(VALU_DEP_4)
	v_fma_f32 v10, -v14, v10, v15
	v_fmac_f32_e32 v7, v14, v11
	s_delay_alu instid0(VALU_DEP_4)
	v_fma_f32 v9, -v14, v11, v9
	;; [unrolled: 24-line block ×3, first 2 shown]
	ds_store_b64 v89, v[7:8]
	ds_store_b64 v4, v[0:1] offset:8064
	ds_load_b64 v[0:1], v88
	ds_load_b64 v[7:8], v4 offset:7616
	s_wait_dscnt 0x0
	v_dual_sub_f32 v9, v0, v7 :: v_dual_add_f32 v10, v1, v8
	v_sub_f32_e32 v1, v1, v8
	s_delay_alu instid0(VALU_DEP_2) | instskip(SKIP_1) | instid1(VALU_DEP_1)
	v_dual_add_f32 v7, v0, v7 :: v_dual_mul_f32 v8, 0.5, v9
	s_wait_loadcnt 0x3
	v_dual_mul_f32 v9, 0.5, v10 :: v_dual_mul_f32 v10, v19, v8
	s_delay_alu instid0(VALU_DEP_1) | instskip(SKIP_1) | instid1(VALU_DEP_2)
	v_fma_f32 v0, 0.5, v7, v10
	v_fma_f32 v7, v7, 0.5, -v10
	v_fmac_f32_e32 v0, v18, v9
	v_mul_f32_e32 v1, 0.5, v1
	s_delay_alu instid0(VALU_DEP_3) | instskip(NEXT) | instid1(VALU_DEP_2)
	v_fma_f32 v7, -v18, v9, v7
	v_fma_f32 v11, v9, v19, v1
	v_fma_f32 v12, v9, v19, -v1
	s_delay_alu instid0(VALU_DEP_2) | instskip(NEXT) | instid1(VALU_DEP_2)
	v_fma_f32 v1, -v18, v8, v11
	v_fma_f32 v8, -v18, v8, v12
	ds_store_b64 v88, v[0:1]
	ds_store_b64 v4, v[7:8] offset:7616
	ds_load_b64 v[0:1], v87
	ds_load_b64 v[7:8], v4 offset:7168
	s_wait_dscnt 0x0
	v_dual_sub_f32 v9, v0, v7 :: v_dual_add_f32 v10, v1, v8
	v_sub_f32_e32 v1, v1, v8
	s_delay_alu instid0(VALU_DEP_2) | instskip(SKIP_1) | instid1(VALU_DEP_1)
	v_dual_add_f32 v7, v0, v7 :: v_dual_mul_f32 v8, 0.5, v9
	s_wait_loadcnt 0x2
	v_dual_mul_f32 v9, 0.5, v10 :: v_dual_mul_f32 v10, v17, v8
	s_delay_alu instid0(VALU_DEP_1) | instskip(SKIP_1) | instid1(VALU_DEP_2)
	v_fma_f32 v0, 0.5, v7, v10
	v_fma_f32 v7, v7, 0.5, -v10
	v_fmac_f32_e32 v0, v16, v9
	v_mul_f32_e32 v1, 0.5, v1
	s_delay_alu instid0(VALU_DEP_3) | instskip(NEXT) | instid1(VALU_DEP_2)
	v_fma_f32 v7, -v16, v9, v7
	v_fma_f32 v11, v9, v17, v1
	v_fma_f32 v12, v9, v17, -v1
	s_delay_alu instid0(VALU_DEP_2) | instskip(NEXT) | instid1(VALU_DEP_2)
	v_fma_f32 v1, -v16, v8, v11
	v_fma_f32 v8, -v16, v8, v12
	ds_store_b64 v87, v[0:1]
	ds_store_b64 v4, v[7:8] offset:7168
	ds_load_b64 v[0:1], v86
	ds_load_b64 v[7:8], v4 offset:6720
	s_wait_dscnt 0x0
	v_dual_sub_f32 v9, v0, v7 :: v_dual_add_f32 v10, v1, v8
	s_delay_alu instid0(VALU_DEP_1) | instskip(NEXT) | instid1(VALU_DEP_2)
	v_dual_sub_f32 v1, v1, v8 :: v_dual_mul_f32 v8, 0.5, v9
	v_mul_f32_e32 v9, 0.5, v10
	v_add_f32_e32 v7, v0, v7
	s_wait_loadcnt 0x1
	s_delay_alu instid0(VALU_DEP_3) | instskip(NEXT) | instid1(VALU_DEP_1)
	v_dual_mul_f32 v1, 0.5, v1 :: v_dual_mul_f32 v10, v6, v8
	v_fma_f32 v11, v9, v6, v1
	v_fma_f32 v6, v9, v6, -v1
	s_delay_alu instid0(VALU_DEP_3) | instskip(NEXT) | instid1(VALU_DEP_3)
	v_fma_f32 v0, 0.5, v7, v10
	v_fma_f32 v1, -v5, v8, v11
	s_delay_alu instid0(VALU_DEP_3) | instskip(NEXT) | instid1(VALU_DEP_3)
	v_fma_f32 v6, -v5, v8, v6
	v_fmac_f32_e32 v0, v5, v9
	v_fma_f32 v7, v7, 0.5, -v10
	s_delay_alu instid0(VALU_DEP_1)
	v_fma_f32 v5, -v5, v9, v7
	ds_store_b64 v86, v[0:1]
	ds_store_b64 v4, v[5:6] offset:6720
	ds_load_b64 v[0:1], v85
	ds_load_b64 v[5:6], v4 offset:6272
	s_wait_dscnt 0x0
	v_dual_sub_f32 v7, v0, v5 :: v_dual_add_f32 v8, v1, v6
	v_sub_f32_e32 v1, v1, v6
	s_delay_alu instid0(VALU_DEP_2) | instskip(NEXT) | instid1(VALU_DEP_3)
	v_dual_add_f32 v5, v0, v5 :: v_dual_mul_f32 v6, 0.5, v7
	v_mul_f32_e32 v7, 0.5, v8
	s_wait_loadcnt 0x0
	s_delay_alu instid0(VALU_DEP_2) | instskip(NEXT) | instid1(VALU_DEP_1)
	v_dual_mul_f32 v1, 0.5, v1 :: v_dual_mul_f32 v8, v3, v6
	v_fma_f32 v9, v7, v3, v1
	v_fma_f32 v3, v7, v3, -v1
	s_delay_alu instid0(VALU_DEP_3) | instskip(SKIP_1) | instid1(VALU_DEP_4)
	v_fma_f32 v0, 0.5, v5, v8
	v_fma_f32 v5, v5, 0.5, -v8
	v_fma_f32 v1, -v2, v6, v9
	s_delay_alu instid0(VALU_DEP_4) | instskip(NEXT) | instid1(VALU_DEP_4)
	v_fma_f32 v3, -v2, v6, v3
	v_fmac_f32_e32 v0, v2, v7
	s_delay_alu instid0(VALU_DEP_4)
	v_fma_f32 v2, -v2, v7, v5
	ds_store_b64 v85, v[0:1]
	ds_store_b64 v4, v[2:3] offset:6272
	s_and_saveexec_b32 s1, s0
	s_cbranch_execz .LBB0_33
; %bb.32:
	v_mov_b32_e32 v57, v55
	s_delay_alu instid0(VALU_DEP_1) | instskip(NEXT) | instid1(VALU_DEP_1)
	v_lshlrev_b64_e32 v[0:1], 3, v[56:57]
	v_add_co_u32 v0, s0, s8, v0
	s_wait_alu 0xf1ff
	s_delay_alu instid0(VALU_DEP_2)
	v_add_co_ci_u32_e64 v1, s0, s9, v1, s0
	global_load_b64 v[0:1], v[0:1], off offset:11184
	ds_load_b64 v[2:3], v77
	ds_load_b64 v[5:6], v4 offset:5824
	s_wait_dscnt 0x0
	v_dual_sub_f32 v7, v2, v5 :: v_dual_add_f32 v8, v3, v6
	v_dual_sub_f32 v3, v3, v6 :: v_dual_add_f32 v2, v2, v5
	s_delay_alu instid0(VALU_DEP_2) | instskip(NEXT) | instid1(VALU_DEP_2)
	v_dual_mul_f32 v6, 0.5, v7 :: v_dual_mul_f32 v7, 0.5, v8
	v_mul_f32_e32 v3, 0.5, v3
	s_wait_loadcnt 0x0
	s_delay_alu instid0(VALU_DEP_2) | instskip(NEXT) | instid1(VALU_DEP_2)
	v_mul_f32_e32 v5, v1, v6
	v_fma_f32 v8, v7, v1, v3
	v_fma_f32 v3, v7, v1, -v3
	s_delay_alu instid0(VALU_DEP_3) | instskip(SKIP_1) | instid1(VALU_DEP_4)
	v_fma_f32 v1, 0.5, v2, v5
	v_fma_f32 v5, v2, 0.5, -v5
	v_fma_f32 v2, -v0, v6, v8
	s_delay_alu instid0(VALU_DEP_4) | instskip(NEXT) | instid1(VALU_DEP_4)
	v_fma_f32 v6, -v0, v6, v3
	v_fmac_f32_e32 v1, v0, v7
	s_delay_alu instid0(VALU_DEP_4)
	v_fma_f32 v5, -v0, v7, v5
	ds_store_b64 v77, v[1:2]
	ds_store_b64 v4, v[5:6] offset:5824
.LBB0_33:
	s_wait_alu 0xfffe
	s_or_b32 exec_lo, exec_lo, s1
	global_wb scope:SCOPE_SE
	s_wait_dscnt 0x0
	s_barrier_signal -1
	s_barrier_wait -1
	global_inv scope:SCOPE_SE
	s_and_saveexec_b32 s0, vcc_lo
	s_cbranch_execz .LBB0_36
; %bb.34:
	v_mul_lo_u32 v2, s5, v52
	v_mul_lo_u32 v3, s4, v53
	v_mad_co_u64_u32 v[0:1], null, s4, v52, 0
	v_dual_mov_b32 v49, 0 :: v_dual_add_nc_u32 v12, 56, v48
	v_lshlrev_b64_e32 v[10:11], 3, v[50:51]
	v_lshl_add_u32 v20, v48, 3, 0
	s_delay_alu instid0(VALU_DEP_3)
	v_dual_mov_b32 v13, v49 :: v_dual_add_nc_u32 v14, 0x70, v48
	v_add3_u32 v1, v1, v3, v2
	v_lshlrev_b64_e32 v[16:17], 3, v[48:49]
	v_mov_b32_e32 v15, v49
	ds_load_2addr_b64 v[2:5], v20 offset1:56
	ds_load_2addr_b64 v[6:9], v20 offset0:112 offset1:168
	v_lshlrev_b64_e32 v[0:1], 3, v[0:1]
	v_lshlrev_b64_e32 v[12:13], 3, v[12:13]
	v_mov_b32_e32 v19, v49
	v_add_nc_u32_e32 v21, 0x400, v20
	v_add_nc_u32_e32 v18, 0xe0, v48
	v_add_co_u32 v0, vcc_lo, s6, v0
	s_wait_alu 0xfffd
	v_add_co_ci_u32_e32 v1, vcc_lo, s7, v1, vcc_lo
	s_delay_alu instid0(VALU_DEP_2) | instskip(SKIP_1) | instid1(VALU_DEP_2)
	v_add_co_u32 v0, vcc_lo, v0, v10
	s_wait_alu 0xfffd
	v_add_co_ci_u32_e32 v1, vcc_lo, v1, v11, vcc_lo
	v_lshlrev_b64_e32 v[10:11], 3, v[14:15]
	s_delay_alu instid0(VALU_DEP_3) | instskip(SKIP_1) | instid1(VALU_DEP_3)
	v_add_co_u32 v14, vcc_lo, v0, v16
	s_wait_alu 0xfffd
	v_add_co_ci_u32_e32 v15, vcc_lo, v1, v17, vcc_lo
	v_dual_mov_b32 v17, v49 :: v_dual_add_nc_u32 v16, 0xa8, v48
	v_add_co_u32 v12, vcc_lo, v0, v12
	s_wait_alu 0xfffd
	v_add_co_ci_u32_e32 v13, vcc_lo, v1, v13, vcc_lo
	s_delay_alu instid0(VALU_DEP_3) | instskip(SKIP_3) | instid1(VALU_DEP_3)
	v_lshlrev_b64_e32 v[16:17], 3, v[16:17]
	v_add_co_u32 v10, vcc_lo, v0, v10
	s_wait_alu 0xfffd
	v_add_co_ci_u32_e32 v11, vcc_lo, v1, v11, vcc_lo
	v_add_co_u32 v16, vcc_lo, v0, v16
	s_wait_alu 0xfffd
	v_add_co_ci_u32_e32 v17, vcc_lo, v1, v17, vcc_lo
	s_wait_dscnt 0x1
	s_clause 0x1
	global_store_b64 v[14:15], v[2:3], off
	global_store_b64 v[12:13], v[4:5], off
	s_wait_dscnt 0x0
	s_clause 0x1
	global_store_b64 v[10:11], v[6:7], off
	global_store_b64 v[16:17], v[8:9], off
	v_add_nc_u32_e32 v8, 0x118, v48
	v_lshlrev_b64_e32 v[6:7], 3, v[18:19]
	ds_load_2addr_b64 v[2:5], v21 offset0:96 offset1:152
	v_dual_mov_b32 v9, v49 :: v_dual_add_nc_u32 v10, 0x150, v48
	v_add_nc_u32_e32 v21, 0x800, v20
	v_dual_mov_b32 v11, v49 :: v_dual_add_nc_u32 v16, 0x188, v48
	v_add_co_u32 v12, vcc_lo, v0, v6
	s_wait_alu 0xfffd
	v_add_co_ci_u32_e32 v13, vcc_lo, v1, v7, vcc_lo
	v_lshlrev_b64_e32 v[14:15], 3, v[8:9]
	ds_load_2addr_b64 v[6:9], v21 offset0:80 offset1:136
	v_dual_mov_b32 v17, v49 :: v_dual_add_nc_u32 v18, 0x1c0, v48
	v_lshlrev_b64_e32 v[10:11], 3, v[10:11]
	v_add_co_u32 v14, vcc_lo, v0, v14
	s_delay_alu instid0(VALU_DEP_3) | instskip(SKIP_2) | instid1(VALU_DEP_4)
	v_lshlrev_b64_e32 v[16:17], 3, v[16:17]
	s_wait_alu 0xfffd
	v_add_co_ci_u32_e32 v15, vcc_lo, v1, v15, vcc_lo
	v_add_co_u32 v10, vcc_lo, v0, v10
	s_wait_alu 0xfffd
	v_add_co_ci_u32_e32 v11, vcc_lo, v1, v11, vcc_lo
	v_add_co_u32 v16, vcc_lo, v0, v16
	s_wait_alu 0xfffd
	v_add_co_ci_u32_e32 v17, vcc_lo, v1, v17, vcc_lo
	s_wait_dscnt 0x1
	s_clause 0x1
	global_store_b64 v[12:13], v[2:3], off
	global_store_b64 v[14:15], v[4:5], off
	s_wait_dscnt 0x0
	s_clause 0x1
	global_store_b64 v[10:11], v[6:7], off
	global_store_b64 v[16:17], v[8:9], off
	v_lshlrev_b64_e32 v[6:7], 3, v[18:19]
	ds_load_2addr_b64 v[2:5], v21 offset0:192 offset1:248
	v_dual_mov_b32 v9, v49 :: v_dual_add_nc_u32 v8, 0x1f8, v48
	v_add_nc_u32_e32 v21, 0x1000, v20
	v_dual_mov_b32 v11, v49 :: v_dual_add_nc_u32 v10, 0x230, v48
	v_add_co_u32 v12, vcc_lo, v0, v6
	s_wait_alu 0xfffd
	v_add_co_ci_u32_e32 v13, vcc_lo, v1, v7, vcc_lo
	v_lshlrev_b64_e32 v[14:15], 3, v[8:9]
	ds_load_2addr_b64 v[6:9], v21 offset0:48 offset1:104
	v_dual_mov_b32 v17, v49 :: v_dual_add_nc_u32 v16, 0x268, v48
	v_lshlrev_b64_e32 v[10:11], 3, v[10:11]
	v_add_nc_u32_e32 v18, 0x2a0, v48
	v_add_co_u32 v14, vcc_lo, v0, v14
	s_delay_alu instid0(VALU_DEP_4)
	v_lshlrev_b64_e32 v[16:17], 3, v[16:17]
	s_wait_alu 0xfffd
	v_add_co_ci_u32_e32 v15, vcc_lo, v1, v15, vcc_lo
	v_add_co_u32 v10, vcc_lo, v0, v10
	s_wait_alu 0xfffd
	v_add_co_ci_u32_e32 v11, vcc_lo, v1, v11, vcc_lo
	v_add_co_u32 v16, vcc_lo, v0, v16
	s_wait_alu 0xfffd
	v_add_co_ci_u32_e32 v17, vcc_lo, v1, v17, vcc_lo
	s_wait_dscnt 0x1
	s_clause 0x1
	global_store_b64 v[12:13], v[2:3], off
	global_store_b64 v[14:15], v[4:5], off
	s_wait_dscnt 0x0
	s_clause 0x1
	global_store_b64 v[10:11], v[6:7], off
	global_store_b64 v[16:17], v[8:9], off
	v_mov_b32_e32 v9, v49
	v_lshlrev_b64_e32 v[6:7], 3, v[18:19]
	ds_load_2addr_b64 v[2:5], v21 offset0:160 offset1:216
	v_dual_mov_b32 v11, v49 :: v_dual_add_nc_u32 v8, 0x2d8, v48
	v_add_nc_u32_e32 v21, 0x1800, v20
	v_dual_mov_b32 v17, v49 :: v_dual_add_nc_u32 v10, 0x310, v48
	v_add_co_u32 v12, vcc_lo, v0, v6
	s_wait_alu 0xfffd
	v_add_co_ci_u32_e32 v13, vcc_lo, v1, v7, vcc_lo
	v_lshlrev_b64_e32 v[14:15], 3, v[8:9]
	ds_load_2addr_b64 v[6:9], v21 offset0:16 offset1:72
	v_add_nc_u32_e32 v16, 0x348, v48
	v_lshlrev_b64_e32 v[10:11], 3, v[10:11]
	v_add_nc_u32_e32 v18, 0x380, v48
	v_add_co_u32 v14, vcc_lo, v0, v14
	s_delay_alu instid0(VALU_DEP_4)
	v_lshlrev_b64_e32 v[16:17], 3, v[16:17]
	s_wait_alu 0xfffd
	v_add_co_ci_u32_e32 v15, vcc_lo, v1, v15, vcc_lo
	v_add_co_u32 v10, vcc_lo, v0, v10
	s_wait_alu 0xfffd
	v_add_co_ci_u32_e32 v11, vcc_lo, v1, v11, vcc_lo
	v_add_co_u32 v16, vcc_lo, v0, v16
	s_wait_alu 0xfffd
	v_add_co_ci_u32_e32 v17, vcc_lo, v1, v17, vcc_lo
	s_wait_dscnt 0x1
	s_clause 0x1
	global_store_b64 v[12:13], v[2:3], off
	global_store_b64 v[14:15], v[4:5], off
	s_wait_dscnt 0x0
	s_clause 0x1
	global_store_b64 v[10:11], v[6:7], off
	global_store_b64 v[16:17], v[8:9], off
	v_mov_b32_e32 v11, v49
	v_lshlrev_b64_e32 v[6:7], 3, v[18:19]
	v_dual_mov_b32 v17, v49 :: v_dual_add_nc_u32 v8, 0x3b8, v48
	v_dual_mov_b32 v9, v49 :: v_dual_add_nc_u32 v16, 0x1c00, v20
	ds_load_2addr_b64 v[2:5], v21 offset0:128 offset1:184
	v_add_co_u32 v12, vcc_lo, v0, v6
	v_add_nc_u32_e32 v10, 0x3f0, v48
	s_wait_alu 0xfffd
	v_add_co_ci_u32_e32 v13, vcc_lo, v1, v7, vcc_lo
	v_lshlrev_b64_e32 v[14:15], 3, v[8:9]
	ds_load_2addr_b64 v[6:9], v16 offset0:112 offset1:168
	v_add_nc_u32_e32 v16, 0x428, v48
	v_lshlrev_b64_e32 v[10:11], 3, v[10:11]
	v_add_nc_u32_e32 v18, 0x460, v48
	v_add_nc_u32_e32 v21, 0x2000, v20
	v_add_co_u32 v14, vcc_lo, v0, v14
	v_lshlrev_b64_e32 v[16:17], 3, v[16:17]
	s_wait_alu 0xfffd
	v_add_co_ci_u32_e32 v15, vcc_lo, v1, v15, vcc_lo
	v_add_co_u32 v10, vcc_lo, v0, v10
	s_wait_alu 0xfffd
	v_add_co_ci_u32_e32 v11, vcc_lo, v1, v11, vcc_lo
	v_add_co_u32 v16, vcc_lo, v0, v16
	s_wait_alu 0xfffd
	v_add_co_ci_u32_e32 v17, vcc_lo, v1, v17, vcc_lo
	s_wait_dscnt 0x1
	s_clause 0x1
	global_store_b64 v[12:13], v[2:3], off
	global_store_b64 v[14:15], v[4:5], off
	s_wait_dscnt 0x0
	s_clause 0x1
	global_store_b64 v[10:11], v[6:7], off
	global_store_b64 v[16:17], v[8:9], off
	v_dual_mov_b32 v7, v49 :: v_dual_add_nc_u32 v6, 0x498, v48
	v_lshlrev_b64_e32 v[18:19], 3, v[18:19]
	v_dual_mov_b32 v13, v49 :: v_dual_add_nc_u32 v12, 0x4d0, v48
	v_add_nc_u32_e32 v8, 0x2400, v20
	s_delay_alu instid0(VALU_DEP_4)
	v_lshlrev_b64_e32 v[6:7], 3, v[6:7]
	v_add_nc_u32_e32 v14, 0x508, v48
	v_add_co_u32 v10, vcc_lo, v0, v18
	v_mov_b32_e32 v15, v49
	s_wait_alu 0xfffd
	v_add_co_ci_u32_e32 v11, vcc_lo, v1, v19, vcc_lo
	v_mov_b32_e32 v19, v49
	ds_load_2addr_b64 v[2:5], v21 offset0:96 offset1:152
	v_add_co_u32 v16, vcc_lo, v0, v6
	v_lshlrev_b64_e32 v[12:13], 3, v[12:13]
	v_add_nc_u32_e32 v18, 0x540, v48
	s_wait_alu 0xfffd
	v_add_co_ci_u32_e32 v17, vcc_lo, v1, v7, vcc_lo
	ds_load_2addr_b64 v[6:9], v8 offset0:80 offset1:136
	v_lshlrev_b64_e32 v[14:15], 3, v[14:15]
	ds_load_b64 v[20:21], v20 offset:10752
	v_add_co_u32 v12, vcc_lo, v0, v12
	v_lshlrev_b64_e32 v[18:19], 3, v[18:19]
	s_wait_alu 0xfffd
	v_add_co_ci_u32_e32 v13, vcc_lo, v1, v13, vcc_lo
	v_add_co_u32 v14, vcc_lo, v0, v14
	s_wait_alu 0xfffd
	v_add_co_ci_u32_e32 v15, vcc_lo, v1, v15, vcc_lo
	v_add_co_u32 v18, vcc_lo, v0, v18
	s_wait_alu 0xfffd
	v_add_co_ci_u32_e32 v19, vcc_lo, v1, v19, vcc_lo
	v_cmp_eq_u32_e32 vcc_lo, 55, v48
	s_wait_dscnt 0x2
	s_clause 0x1
	global_store_b64 v[10:11], v[2:3], off
	global_store_b64 v[16:17], v[4:5], off
	s_wait_dscnt 0x1
	s_clause 0x1
	global_store_b64 v[12:13], v[6:7], off
	global_store_b64 v[14:15], v[8:9], off
	s_wait_dscnt 0x0
	global_store_b64 v[18:19], v[20:21], off
	s_and_b32 exec_lo, exec_lo, vcc_lo
	s_cbranch_execz .LBB0_36
; %bb.35:
	ds_load_b64 v[2:3], v49 offset:11200
	s_wait_dscnt 0x0
	global_store_b64 v[0:1], v[2:3], off offset:11200
.LBB0_36:
	s_nop 0
	s_sendmsg sendmsg(MSG_DEALLOC_VGPRS)
	s_endpgm
	.section	.rodata,"a",@progbits
	.p2align	6, 0x0
	.amdhsa_kernel fft_rtc_fwd_len1400_factors_2_2_2_5_7_5_wgs_56_tpt_56_halfLds_sp_op_CI_CI_unitstride_sbrr_R2C_dirReg
		.amdhsa_group_segment_fixed_size 0
		.amdhsa_private_segment_fixed_size 0
		.amdhsa_kernarg_size 104
		.amdhsa_user_sgpr_count 2
		.amdhsa_user_sgpr_dispatch_ptr 0
		.amdhsa_user_sgpr_queue_ptr 0
		.amdhsa_user_sgpr_kernarg_segment_ptr 1
		.amdhsa_user_sgpr_dispatch_id 0
		.amdhsa_user_sgpr_private_segment_size 0
		.amdhsa_wavefront_size32 1
		.amdhsa_uses_dynamic_stack 0
		.amdhsa_enable_private_segment 0
		.amdhsa_system_sgpr_workgroup_id_x 1
		.amdhsa_system_sgpr_workgroup_id_y 0
		.amdhsa_system_sgpr_workgroup_id_z 0
		.amdhsa_system_sgpr_workgroup_info 0
		.amdhsa_system_vgpr_workitem_id 0
		.amdhsa_next_free_vgpr 158
		.amdhsa_next_free_sgpr 39
		.amdhsa_reserve_vcc 1
		.amdhsa_float_round_mode_32 0
		.amdhsa_float_round_mode_16_64 0
		.amdhsa_float_denorm_mode_32 3
		.amdhsa_float_denorm_mode_16_64 3
		.amdhsa_fp16_overflow 0
		.amdhsa_workgroup_processor_mode 1
		.amdhsa_memory_ordered 1
		.amdhsa_forward_progress 0
		.amdhsa_round_robin_scheduling 0
		.amdhsa_exception_fp_ieee_invalid_op 0
		.amdhsa_exception_fp_denorm_src 0
		.amdhsa_exception_fp_ieee_div_zero 0
		.amdhsa_exception_fp_ieee_overflow 0
		.amdhsa_exception_fp_ieee_underflow 0
		.amdhsa_exception_fp_ieee_inexact 0
		.amdhsa_exception_int_div_zero 0
	.end_amdhsa_kernel
	.text
.Lfunc_end0:
	.size	fft_rtc_fwd_len1400_factors_2_2_2_5_7_5_wgs_56_tpt_56_halfLds_sp_op_CI_CI_unitstride_sbrr_R2C_dirReg, .Lfunc_end0-fft_rtc_fwd_len1400_factors_2_2_2_5_7_5_wgs_56_tpt_56_halfLds_sp_op_CI_CI_unitstride_sbrr_R2C_dirReg
                                        ; -- End function
	.section	.AMDGPU.csdata,"",@progbits
; Kernel info:
; codeLenInByte = 18584
; NumSgprs: 41
; NumVgprs: 158
; ScratchSize: 0
; MemoryBound: 0
; FloatMode: 240
; IeeeMode: 1
; LDSByteSize: 0 bytes/workgroup (compile time only)
; SGPRBlocks: 5
; VGPRBlocks: 19
; NumSGPRsForWavesPerEU: 41
; NumVGPRsForWavesPerEU: 158
; Occupancy: 9
; WaveLimiterHint : 1
; COMPUTE_PGM_RSRC2:SCRATCH_EN: 0
; COMPUTE_PGM_RSRC2:USER_SGPR: 2
; COMPUTE_PGM_RSRC2:TRAP_HANDLER: 0
; COMPUTE_PGM_RSRC2:TGID_X_EN: 1
; COMPUTE_PGM_RSRC2:TGID_Y_EN: 0
; COMPUTE_PGM_RSRC2:TGID_Z_EN: 0
; COMPUTE_PGM_RSRC2:TIDIG_COMP_CNT: 0
	.text
	.p2alignl 7, 3214868480
	.fill 96, 4, 3214868480
	.type	__hip_cuid_115e60b61c335887,@object ; @__hip_cuid_115e60b61c335887
	.section	.bss,"aw",@nobits
	.globl	__hip_cuid_115e60b61c335887
__hip_cuid_115e60b61c335887:
	.byte	0                               ; 0x0
	.size	__hip_cuid_115e60b61c335887, 1

	.ident	"AMD clang version 19.0.0git (https://github.com/RadeonOpenCompute/llvm-project roc-6.4.0 25133 c7fe45cf4b819c5991fe208aaa96edf142730f1d)"
	.section	".note.GNU-stack","",@progbits
	.addrsig
	.addrsig_sym __hip_cuid_115e60b61c335887
	.amdgpu_metadata
---
amdhsa.kernels:
  - .args:
      - .actual_access:  read_only
        .address_space:  global
        .offset:         0
        .size:           8
        .value_kind:     global_buffer
      - .offset:         8
        .size:           8
        .value_kind:     by_value
      - .actual_access:  read_only
        .address_space:  global
        .offset:         16
        .size:           8
        .value_kind:     global_buffer
      - .actual_access:  read_only
        .address_space:  global
        .offset:         24
        .size:           8
        .value_kind:     global_buffer
      - .actual_access:  read_only
        .address_space:  global
        .offset:         32
        .size:           8
        .value_kind:     global_buffer
      - .offset:         40
        .size:           8
        .value_kind:     by_value
      - .actual_access:  read_only
        .address_space:  global
        .offset:         48
        .size:           8
        .value_kind:     global_buffer
      - .actual_access:  read_only
        .address_space:  global
        .offset:         56
        .size:           8
        .value_kind:     global_buffer
      - .offset:         64
        .size:           4
        .value_kind:     by_value
      - .actual_access:  read_only
        .address_space:  global
        .offset:         72
        .size:           8
        .value_kind:     global_buffer
      - .actual_access:  read_only
        .address_space:  global
        .offset:         80
        .size:           8
        .value_kind:     global_buffer
      - .actual_access:  read_only
        .address_space:  global
        .offset:         88
        .size:           8
        .value_kind:     global_buffer
      - .actual_access:  write_only
        .address_space:  global
        .offset:         96
        .size:           8
        .value_kind:     global_buffer
    .group_segment_fixed_size: 0
    .kernarg_segment_align: 8
    .kernarg_segment_size: 104
    .language:       OpenCL C
    .language_version:
      - 2
      - 0
    .max_flat_workgroup_size: 56
    .name:           fft_rtc_fwd_len1400_factors_2_2_2_5_7_5_wgs_56_tpt_56_halfLds_sp_op_CI_CI_unitstride_sbrr_R2C_dirReg
    .private_segment_fixed_size: 0
    .sgpr_count:     41
    .sgpr_spill_count: 0
    .symbol:         fft_rtc_fwd_len1400_factors_2_2_2_5_7_5_wgs_56_tpt_56_halfLds_sp_op_CI_CI_unitstride_sbrr_R2C_dirReg.kd
    .uniform_work_group_size: 1
    .uses_dynamic_stack: false
    .vgpr_count:     158
    .vgpr_spill_count: 0
    .wavefront_size: 32
    .workgroup_processor_mode: 1
amdhsa.target:   amdgcn-amd-amdhsa--gfx1201
amdhsa.version:
  - 1
  - 2
...

	.end_amdgpu_metadata
